;; amdgpu-corpus repo=ROCm/rocFFT kind=compiled arch=gfx950 opt=O3
	.text
	.amdgcn_target "amdgcn-amd-amdhsa--gfx950"
	.amdhsa_code_object_version 6
	.protected	fft_rtc_fwd_len680_factors_17_4_10_wgs_204_tpt_68_halfLds_sp_op_CI_CI_sbrr_dirReg ; -- Begin function fft_rtc_fwd_len680_factors_17_4_10_wgs_204_tpt_68_halfLds_sp_op_CI_CI_sbrr_dirReg
	.globl	fft_rtc_fwd_len680_factors_17_4_10_wgs_204_tpt_68_halfLds_sp_op_CI_CI_sbrr_dirReg
	.p2align	8
	.type	fft_rtc_fwd_len680_factors_17_4_10_wgs_204_tpt_68_halfLds_sp_op_CI_CI_sbrr_dirReg,@function
fft_rtc_fwd_len680_factors_17_4_10_wgs_204_tpt_68_halfLds_sp_op_CI_CI_sbrr_dirReg: ; @fft_rtc_fwd_len680_factors_17_4_10_wgs_204_tpt_68_halfLds_sp_op_CI_CI_sbrr_dirReg
; %bb.0:
	s_load_dwordx4 s[12:15], s[0:1], 0x18
	s_load_dwordx4 s[4:7], s[0:1], 0x0
	;; [unrolled: 1-line block ×3, first 2 shown]
	v_mul_u32_u24_e32 v1, 0x3c4, v0
	v_lshrrev_b32_e32 v2, 16, v1
	s_waitcnt lgkmcnt(0)
	s_load_dwordx2 s[18:19], s[12:13], 0x0
	s_load_dwordx2 s[16:17], s[14:15], 0x0
	v_mad_u64_u32 v[16:17], s[2:3], s2, 3, v[2:3]
	v_mov_b32_e32 v2, 0
	v_mov_b32_e32 v17, v2
	v_cmp_lt_u64_e64 s[2:3], s[6:7], 2
	v_mov_b64_e32 v[24:25], 0
	s_and_b64 vcc, exec, s[2:3]
	v_mov_b64_e32 v[12:13], v[24:25]
	v_mov_b64_e32 v[14:15], v[16:17]
	s_cbranch_vccnz .LBB0_8
; %bb.1:
	s_load_dwordx2 s[2:3], s[0:1], 0x10
	s_add_u32 s20, s14, 8
	s_addc_u32 s21, s15, 0
	s_add_u32 s22, s12, 8
	s_addc_u32 s23, s13, 0
	s_waitcnt lgkmcnt(0)
	s_add_u32 s24, s2, 8
	v_mov_b64_e32 v[24:25], 0
	s_addc_u32 s25, s3, 0
	s_mov_b64 s[26:27], 1
	v_mov_b64_e32 v[12:13], v[24:25]
	v_mov_b64_e32 v[4:5], v[16:17]
.LBB0_2:                                ; =>This Inner Loop Header: Depth=1
	s_load_dwordx2 s[28:29], s[24:25], 0x0
                                        ; implicit-def: $vgpr14_vgpr15
	s_waitcnt lgkmcnt(0)
	v_or_b32_e32 v3, s29, v5
	v_cmp_ne_u64_e32 vcc, 0, v[2:3]
	s_and_saveexec_b64 s[2:3], vcc
	s_xor_b64 s[30:31], exec, s[2:3]
	s_cbranch_execz .LBB0_4
; %bb.3:                                ;   in Loop: Header=BB0_2 Depth=1
	v_cvt_f32_u32_e32 v1, s28
	v_cvt_f32_u32_e32 v3, s29
	s_sub_u32 s2, 0, s28
	s_subb_u32 s3, 0, s29
	v_fmac_f32_e32 v1, 0x4f800000, v3
	v_rcp_f32_e32 v1, v1
	s_nop 0
	v_mul_f32_e32 v1, 0x5f7ffffc, v1
	v_mul_f32_e32 v3, 0x2f800000, v1
	v_trunc_f32_e32 v3, v3
	v_fmac_f32_e32 v1, 0xcf800000, v3
	v_cvt_u32_f32_e32 v3, v3
	v_cvt_u32_f32_e32 v1, v1
	v_mul_lo_u32 v6, s2, v3
	v_mul_hi_u32 v8, s2, v1
	v_mul_lo_u32 v7, s3, v1
	v_add_u32_e32 v8, v8, v6
	v_mul_lo_u32 v10, s2, v1
	v_add_u32_e32 v11, v8, v7
	v_mul_hi_u32 v6, v1, v10
	v_mul_hi_u32 v9, v1, v11
	v_mul_lo_u32 v8, v1, v11
	v_mov_b32_e32 v7, v2
	v_lshl_add_u64 v[6:7], v[6:7], 0, v[8:9]
	v_mul_hi_u32 v9, v3, v10
	v_mul_lo_u32 v10, v3, v10
	v_add_co_u32_e32 v6, vcc, v6, v10
	v_mul_hi_u32 v8, v3, v11
	s_nop 0
	v_addc_co_u32_e32 v6, vcc, v7, v9, vcc
	v_mov_b32_e32 v7, v2
	s_nop 0
	v_addc_co_u32_e32 v9, vcc, 0, v8, vcc
	v_mul_lo_u32 v8, v3, v11
	v_lshl_add_u64 v[6:7], v[6:7], 0, v[8:9]
	v_add_co_u32_e32 v1, vcc, v1, v6
	v_mul_lo_u32 v8, s2, v1
	s_nop 0
	v_addc_co_u32_e32 v3, vcc, v3, v7, vcc
	v_mul_lo_u32 v6, s2, v3
	v_mul_hi_u32 v7, s2, v1
	v_add_u32_e32 v6, v7, v6
	v_mul_lo_u32 v7, s3, v1
	v_add_u32_e32 v10, v6, v7
	v_mul_hi_u32 v14, v3, v8
	v_mul_lo_u32 v15, v3, v8
	v_mul_hi_u32 v7, v1, v10
	v_mul_lo_u32 v6, v1, v10
	v_mul_hi_u32 v8, v1, v8
	v_mov_b32_e32 v9, v2
	v_lshl_add_u64 v[6:7], v[8:9], 0, v[6:7]
	v_add_co_u32_e32 v6, vcc, v6, v15
	v_mul_hi_u32 v11, v3, v10
	s_nop 0
	v_addc_co_u32_e32 v6, vcc, v7, v14, vcc
	v_mul_lo_u32 v8, v3, v10
	s_nop 0
	v_addc_co_u32_e32 v9, vcc, 0, v11, vcc
	v_mov_b32_e32 v7, v2
	v_lshl_add_u64 v[6:7], v[6:7], 0, v[8:9]
	v_add_co_u32_e32 v1, vcc, v1, v6
	v_mul_hi_u32 v8, v4, v1
	s_nop 0
	v_addc_co_u32_e32 v3, vcc, v3, v7, vcc
	v_mad_u64_u32 v[6:7], s[2:3], v4, v3, 0
	v_mov_b32_e32 v9, v2
	v_lshl_add_u64 v[6:7], v[8:9], 0, v[6:7]
	v_mad_u64_u32 v[10:11], s[2:3], v5, v1, 0
	v_add_co_u32_e32 v1, vcc, v6, v10
	v_mad_u64_u32 v[8:9], s[2:3], v5, v3, 0
	s_nop 0
	v_addc_co_u32_e32 v6, vcc, v7, v11, vcc
	v_mov_b32_e32 v7, v2
	s_nop 0
	v_addc_co_u32_e32 v9, vcc, 0, v9, vcc
	v_lshl_add_u64 v[6:7], v[6:7], 0, v[8:9]
	v_mul_lo_u32 v1, s29, v6
	v_mul_lo_u32 v3, s28, v7
	v_mad_u64_u32 v[8:9], s[2:3], s28, v6, 0
	v_add3_u32 v1, v9, v3, v1
	v_sub_u32_e32 v3, v5, v1
	v_mov_b32_e32 v9, s29
	v_sub_co_u32_e32 v14, vcc, v4, v8
	v_lshl_add_u64 v[10:11], v[6:7], 0, 1
	s_nop 0
	v_subb_co_u32_e64 v3, s[2:3], v3, v9, vcc
	v_subrev_co_u32_e64 v8, s[2:3], s28, v14
	v_subb_co_u32_e32 v1, vcc, v5, v1, vcc
	s_nop 0
	v_subbrev_co_u32_e64 v3, s[2:3], 0, v3, s[2:3]
	v_cmp_le_u32_e64 s[2:3], s29, v3
	v_cmp_le_u32_e32 vcc, s29, v1
	s_nop 0
	v_cndmask_b32_e64 v9, 0, -1, s[2:3]
	v_cmp_le_u32_e64 s[2:3], s28, v8
	s_nop 1
	v_cndmask_b32_e64 v8, 0, -1, s[2:3]
	v_cmp_eq_u32_e64 s[2:3], s29, v3
	s_nop 1
	v_cndmask_b32_e64 v3, v9, v8, s[2:3]
	v_lshl_add_u64 v[8:9], v[6:7], 0, 2
	v_cmp_ne_u32_e64 s[2:3], 0, v3
	s_nop 1
	v_cndmask_b32_e64 v3, v11, v9, s[2:3]
	v_cndmask_b32_e64 v9, 0, -1, vcc
	v_cmp_le_u32_e32 vcc, s28, v14
	s_nop 1
	v_cndmask_b32_e64 v11, 0, -1, vcc
	v_cmp_eq_u32_e32 vcc, s29, v1
	s_nop 1
	v_cndmask_b32_e32 v1, v9, v11, vcc
	v_cmp_ne_u32_e32 vcc, 0, v1
	v_cndmask_b32_e64 v1, v10, v8, s[2:3]
	s_nop 0
	v_cndmask_b32_e32 v15, v7, v3, vcc
	v_cndmask_b32_e32 v14, v6, v1, vcc
.LBB0_4:                                ;   in Loop: Header=BB0_2 Depth=1
	s_andn2_saveexec_b64 s[2:3], s[30:31]
	s_cbranch_execz .LBB0_6
; %bb.5:                                ;   in Loop: Header=BB0_2 Depth=1
	v_cvt_f32_u32_e32 v1, s28
	s_sub_i32 s30, 0, s28
	v_mov_b32_e32 v15, v2
	v_rcp_iflag_f32_e32 v1, v1
	s_nop 0
	v_mul_f32_e32 v1, 0x4f7ffffe, v1
	v_cvt_u32_f32_e32 v1, v1
	v_mul_lo_u32 v3, s30, v1
	v_mul_hi_u32 v3, v1, v3
	v_add_u32_e32 v1, v1, v3
	v_mul_hi_u32 v1, v4, v1
	v_mul_lo_u32 v3, v1, s28
	v_sub_u32_e32 v3, v4, v3
	v_add_u32_e32 v6, 1, v1
	v_subrev_u32_e32 v7, s28, v3
	v_cmp_le_u32_e32 vcc, s28, v3
	s_nop 1
	v_cndmask_b32_e32 v3, v3, v7, vcc
	v_cndmask_b32_e32 v1, v1, v6, vcc
	v_add_u32_e32 v6, 1, v1
	v_cmp_le_u32_e32 vcc, s28, v3
	s_nop 1
	v_cndmask_b32_e32 v14, v1, v6, vcc
.LBB0_6:                                ;   in Loop: Header=BB0_2 Depth=1
	s_or_b64 exec, exec, s[2:3]
	v_mad_u64_u32 v[6:7], s[2:3], v14, s28, 0
	s_load_dwordx2 s[2:3], s[22:23], 0x0
	v_mul_lo_u32 v1, v15, s28
	v_mul_lo_u32 v3, v14, s29
	s_load_dwordx2 s[28:29], s[20:21], 0x0
	s_add_u32 s26, s26, 1
	v_add3_u32 v1, v7, v3, v1
	v_sub_co_u32_e32 v3, vcc, v4, v6
	s_addc_u32 s27, s27, 0
	s_nop 0
	v_subb_co_u32_e32 v1, vcc, v5, v1, vcc
	s_add_u32 s20, s20, 8
	s_waitcnt lgkmcnt(0)
	v_mul_lo_u32 v4, s2, v1
	v_mul_lo_u32 v5, s3, v3
	v_mad_u64_u32 v[24:25], s[2:3], s2, v3, v[24:25]
	s_addc_u32 s21, s21, 0
	v_add3_u32 v25, v5, v25, v4
	v_mul_lo_u32 v1, s28, v1
	v_mul_lo_u32 v4, s29, v3
	v_mad_u64_u32 v[12:13], s[2:3], s28, v3, v[12:13]
	s_add_u32 s22, s22, 8
	v_add3_u32 v13, v4, v13, v1
	s_addc_u32 s23, s23, 0
	v_mov_b64_e32 v[4:5], s[6:7]
	s_add_u32 s24, s24, 8
	v_cmp_ge_u64_e32 vcc, s[26:27], v[4:5]
	s_addc_u32 s25, s25, 0
	s_cbranch_vccnz .LBB0_8
; %bb.7:                                ;   in Loop: Header=BB0_2 Depth=1
	v_mov_b64_e32 v[4:5], v[14:15]
	s_branch .LBB0_2
.LBB0_8:
	s_load_dwordx2 s[0:1], s[0:1], 0x28
	s_lshl_b64 s[20:21], s[6:7], 3
	s_add_u32 s2, s14, s20
	s_addc_u32 s3, s15, s21
	s_load_dwordx2 s[6:7], s[2:3], 0x0
	s_waitcnt lgkmcnt(0)
	v_cmp_gt_u64_e32 vcc, s[0:1], v[14:15]
	s_mov_b32 s0, 0x3c3c3c4
	v_mul_hi_u32 v1, v0, s0
	v_mul_u32_u24_e32 v1, 0x44, v1
	v_mov_b32_e32 v27, 0
	v_sub_u32_e32 v134, v0, v1
	v_mov_b32_e32 v135, 0
	v_mov_b32_e32 v38, v27
                                        ; implicit-def: $vgpr72
                                        ; implicit-def: $vgpr4
                                        ; implicit-def: $vgpr8
                                        ; implicit-def: $vgpr2
                                        ; implicit-def: $vgpr48
                                        ; implicit-def: $vgpr0
                                        ; implicit-def: $vgpr62
                                        ; implicit-def: $vgpr22
                                        ; implicit-def: $vgpr64
                                        ; implicit-def: $vgpr20
                                        ; implicit-def: $vgpr68
                                        ; implicit-def: $vgpr18
                                        ; implicit-def: $vgpr70
                                        ; implicit-def: $vgpr10
                                        ; implicit-def: $vgpr66
                                        ; implicit-def: $vgpr6
	s_and_saveexec_b64 s[2:3], vcc
	s_cbranch_execz .LBB0_12
; %bb.9:
	v_cmp_gt_u32_e64 s[0:1], 40, v134
	v_mov_b32_e32 v38, 0
	v_mov_b32_e32 v27, 0
                                        ; implicit-def: $vgpr7
                                        ; implicit-def: $vgpr67
                                        ; implicit-def: $vgpr11
                                        ; implicit-def: $vgpr71
                                        ; implicit-def: $vgpr19
                                        ; implicit-def: $vgpr69
                                        ; implicit-def: $vgpr21
                                        ; implicit-def: $vgpr65
                                        ; implicit-def: $vgpr23
                                        ; implicit-def: $vgpr63
                                        ; implicit-def: $vgpr1
                                        ; implicit-def: $vgpr49
                                        ; implicit-def: $vgpr3
                                        ; implicit-def: $vgpr9
                                        ; implicit-def: $vgpr5
                                        ; implicit-def: $vgpr72
	s_and_saveexec_b64 s[14:15], s[0:1]
	s_cbranch_execz .LBB0_11
; %bb.10:
	s_add_u32 s0, s12, s20
	s_addc_u32 s1, s13, s21
	s_load_dwordx2 s[0:1], s[0:1], 0x0
	v_add_u32_e32 v17, 0x1e0, v134
	s_waitcnt lgkmcnt(0)
	v_mul_lo_u32 v2, s1, v14
	v_mul_lo_u32 v3, s0, v15
	v_mad_u64_u32 v[0:1], s[0:1], s0, v14, 0
	v_add3_u32 v1, v1, v3, v2
	v_mad_u64_u32 v[2:3], s[0:1], s18, v134, 0
	v_mov_b32_e32 v4, v3
	v_mad_u64_u32 v[4:5], s[0:1], s19, v134, v[4:5]
	v_lshl_add_u64 v[0:1], v[0:1], 3, s[8:9]
	v_mov_b32_e32 v3, v4
	v_lshl_add_u64 v[6:7], v[24:25], 3, v[0:1]
	v_lshl_add_u64 v[0:1], v[2:3], 3, v[6:7]
	v_add_u32_e32 v3, 40, v134
	global_load_dwordx2 v[38:39], v[0:1], off
	v_mad_u64_u32 v[0:1], s[0:1], s18, v3, 0
	v_mov_b32_e32 v2, v1
	v_mad_u64_u32 v[2:3], s[0:1], s19, v3, v[2:3]
	v_mov_b32_e32 v1, v2
	v_add_u32_e32 v3, 0x50, v134
	v_lshl_add_u64 v[24:25], v[0:1], 3, v[6:7]
	v_mad_u64_u32 v[0:1], s[0:1], s18, v3, 0
	v_mov_b32_e32 v2, v1
	v_mad_u64_u32 v[2:3], s[0:1], s19, v3, v[2:3]
	v_mov_b32_e32 v1, v2
	v_add_u32_e32 v3, 0x78, v134
	v_lshl_add_u64 v[26:27], v[0:1], 3, v[6:7]
	;; [unrolled: 6-line block ×6, first 2 shown]
	v_mad_u64_u32 v[0:1], s[0:1], s18, v3, 0
	v_mov_b32_e32 v2, v1
	v_mad_u64_u32 v[2:3], s[0:1], s19, v3, v[2:3]
	v_mov_b32_e32 v1, v2
	v_or_b32_e32 v3, 0x140, v134
	v_lshl_add_u64 v[22:23], v[0:1], 3, v[6:7]
	v_mad_u64_u32 v[0:1], s[0:1], s18, v3, 0
	v_mov_b32_e32 v2, v1
	v_mad_u64_u32 v[2:3], s[0:1], s19, v3, v[2:3]
	v_mov_b32_e32 v1, v2
	v_add_u32_e32 v3, 0x168, v134
	v_lshl_add_u64 v[8:9], v[0:1], 3, v[6:7]
	v_mad_u64_u32 v[0:1], s[0:1], s18, v3, 0
	v_mov_b32_e32 v2, v1
	v_mad_u64_u32 v[2:3], s[0:1], s19, v3, v[2:3]
	v_mov_b32_e32 v1, v2
	v_add_u32_e32 v3, 0x190, v134
	;; [unrolled: 6-line block ×3, first 2 shown]
	v_lshl_add_u64 v[32:33], v[0:1], 3, v[6:7]
	v_mad_u64_u32 v[0:1], s[0:1], s18, v3, 0
	v_mov_b32_e32 v2, v1
	v_mad_u64_u32 v[2:3], s[0:1], s19, v3, v[2:3]
	v_mov_b32_e32 v1, v2
	v_lshl_add_u64 v[34:35], v[0:1], 3, v[6:7]
	global_load_dwordx2 v[4:5], v[8:9], off
	global_load_dwordx2 v[72:73], v[30:31], off
	;; [unrolled: 1-line block ×4, first 2 shown]
	v_mad_u64_u32 v[8:9], s[0:1], s18, v17, 0
	v_mov_b32_e32 v30, v9
	v_mad_u64_u32 v[30:31], s[0:1], s19, v17, v[30:31]
	v_mov_b32_e32 v9, v30
	v_add_u32_e32 v17, 0x208, v134
	v_lshl_add_u64 v[30:31], v[8:9], 3, v[6:7]
	v_mad_u64_u32 v[8:9], s[0:1], s18, v17, 0
	v_mov_b32_e32 v32, v9
	v_mad_u64_u32 v[32:33], s[0:1], s19, v17, v[32:33]
	v_mov_b32_e32 v9, v32
	v_add_u32_e32 v17, 0x230, v134
	v_lshl_add_u64 v[32:33], v[8:9], 3, v[6:7]
	global_load_dwordx2 v[8:9], v[22:23], off
	global_load_dwordx2 v[48:49], v[20:21], off
	;; [unrolled: 1-line block ×4, first 2 shown]
	v_mad_u64_u32 v[10:11], s[0:1], s18, v17, 0
	v_mov_b32_e32 v18, v11
	v_mad_u64_u32 v[18:19], s[0:1], s19, v17, v[18:19]
	v_mov_b32_e32 v11, v18
	v_add_u32_e32 v17, 0x258, v134
	v_lshl_add_u64 v[34:35], v[10:11], 3, v[6:7]
	v_mad_u64_u32 v[10:11], s[0:1], s18, v17, 0
	v_mov_b32_e32 v18, v11
	v_mad_u64_u32 v[18:19], s[0:1], s19, v17, v[18:19]
	v_mov_b32_e32 v11, v18
	v_or_b32_e32 v17, 0x280, v134
	v_lshl_add_u64 v[36:37], v[10:11], 3, v[6:7]
	global_load_dwordx2 v[22:23], v[30:31], off
	global_load_dwordx2 v[20:21], v[32:33], off
	;; [unrolled: 1-line block ×4, first 2 shown]
	v_mad_u64_u32 v[30:31], s[0:1], s18, v17, 0
	v_mov_b32_e32 v32, v31
	v_mad_u64_u32 v[32:33], s[0:1], s19, v17, v[32:33]
	v_mov_b32_e32 v31, v32
	v_lshl_add_u64 v[30:31], v[30:31], 3, v[6:7]
	global_load_dwordx2 v[68:69], v[28:29], off
	global_load_dwordx2 v[70:71], v[26:27], off
	;; [unrolled: 1-line block ×4, first 2 shown]
	s_waitcnt vmcnt(16)
	v_mov_b32_e32 v27, v39
	s_waitcnt vmcnt(14)
	v_mov_b32_e32 v26, v73
.LBB0_11:
	s_or_b64 exec, exec, s[14:15]
	v_mov_b32_e32 v135, v134
.LBB0_12:
	s_or_b64 exec, exec, s[2:3]
	s_mov_b32 s0, 0xaaaaaaab
	v_mul_hi_u32 v17, v16, s0
	v_lshrrev_b32_e32 v17, 1, v17
	s_waitcnt vmcnt(0)
	v_pk_add_f32 v[74:75], v[66:67], v[6:7]
	s_mov_b32 s14, 0xbf59a7d5
	s_mov_b32 s8, 0xbf06c442
	;; [unrolled: 1-line block ×4, first 2 shown]
	v_lshl_add_u32 v17, v17, 1, v17
	v_pk_add_f32 v[32:33], v[66:67], v[6:7] neg_lo:[0,1] neg_hi:[0,1]
	v_pk_add_f32 v[28:29], v[70:71], v[10:11]
	s_mov_b32 s9, 0xbf4c4adb
	s_mov_b32 s21, 0xbe8c1d8e
	v_pk_mul_f32 v[76:77], v[74:75], s[14:15] op_sel_hi:[0,1]
	v_sub_u32_e32 v39, v16, v17
	v_pk_add_f32 v[34:35], v[70:71], v[10:11] neg_lo:[0,1] neg_hi:[0,1]
	s_mov_b32 s13, 0x3f6eb680
	v_pk_add_f32 v[30:31], v[68:69], v[18:19]
	s_mov_b32 s2, 0x3f65296c
	v_pk_fma_f32 v[16:17], v[32:33], s[8:9], v[76:77] op_sel:[1,0,0]
	v_pk_mul_f32 v[78:79], v[28:29], s[20:21] op_sel_hi:[0,1]
	s_mov_b32 s3, 0x3f763a35
	s_mov_b32 s12, 0x3dbcf732
	;; [unrolled: 1-line block ×3, first 2 shown]
	v_pk_add_f32 v[36:37], v[68:69], v[18:19] neg_lo:[0,1] neg_hi:[0,1]
	v_pk_add_f32 v[16:17], v[38:39], v[16:17] op_sel_hi:[0,1]
	v_pk_fma_f32 v[24:25], v[34:35], s[2:3], v[78:79] op_sel:[1,0,0]
	v_pk_mul_f32 v[80:81], v[30:31], s[12:13] op_sel_hi:[0,1]
	s_mov_b32 s25, 0xbeb8f4ab
	v_pk_add_f32 v[40:41], v[64:65], v[20:21]
	s_mov_b32 s0, s15
	s_mov_b32 s1, s14
	v_pk_add_f32 v[16:17], v[16:17], v[24:25]
	v_pk_fma_f32 v[24:25], v[36:37], s[24:25], v[80:81] op_sel:[1,0,0]
	s_mov_b32 s18, 0x3f4c4adb
	s_mov_b32 s19, s8
	v_pk_add_f32 v[50:51], v[64:65], v[20:21] neg_lo:[0,1] neg_hi:[0,1]
	v_pk_mul_f32 v[82:83], v[40:41], s[0:1] op_sel_hi:[0,1]
	s_mov_b32 s0, s13
	s_mov_b32 s1, s12
	v_pk_add_f32 v[42:43], v[62:63], v[22:23]
	v_pk_add_f32 v[16:17], v[16:17], v[24:25]
	v_pk_fma_f32 v[24:25], v[50:51], s[18:19], v[82:83] op_sel:[1,0,0]
	s_mov_b32 s23, 0x3f7ee86f
	s_mov_b32 s22, s25
	v_pk_add_f32 v[54:55], v[62:63], v[22:23] neg_lo:[0,1] neg_hi:[0,1]
	v_pk_mul_f32 v[84:85], v[42:43], s[0:1] op_sel_hi:[0,1]
	s_mov_b32 s30, 0xbf7ba420
	s_mov_b32 s28, 0xbe3c28d5
	;; [unrolled: 1-line block ×3, first 2 shown]
	v_pk_add_f32 v[44:45], v[48:49], v[0:1]
	v_pk_add_f32 v[16:17], v[16:17], v[24:25]
	v_pk_fma_f32 v[24:25], v[54:55], s[22:23], v[84:85] op_sel:[1,0,0]
	s_mov_b32 s29, 0xbf2c7751
	v_pk_add_f32 v[56:57], v[48:49], v[0:1] neg_lo:[0,1] neg_hi:[0,1]
	v_pk_mul_f32 v[86:87], v[44:45], s[30:31] op_sel_hi:[0,1]
	s_mov_b32 s0, s31
	s_mov_b32 s1, s30
	v_pk_add_f32 v[46:47], v[8:9], v[2:3]
	v_mov_b32_e32 v73, v26
	v_pk_add_f32 v[16:17], v[16:17], v[24:25]
	v_pk_fma_f32 v[24:25], v[56:57], s[28:29], v[86:87] op_sel:[1,0,0]
	s_mov_b32 s26, 0x3f2c7751
	s_mov_b32 s27, s28
	v_pk_add_f32 v[58:59], v[8:9], v[2:3] neg_lo:[0,1] neg_hi:[0,1]
	v_pk_mul_f32 v[90:91], v[46:47], s[0:1] op_sel_hi:[0,1]
	s_mov_b32 s0, s21
	s_mov_b32 s1, s20
	v_pk_add_f32 v[52:53], v[4:5], v[72:73]
	v_pk_add_f32 v[16:17], v[16:17], v[24:25]
	v_pk_fma_f32 v[24:25], v[58:59], s[26:27], v[90:91] op_sel:[1,0,0]
	s_mov_b32 s36, 0xbf763a35
	s_mov_b32 s37, s2
	v_pk_add_f32 v[60:61], v[4:5], v[72:73] neg_lo:[0,1] neg_hi:[0,1]
	v_pk_mul_f32 v[88:89], v[52:53], s[0:1] op_sel_hi:[0,1]
	v_pk_add_f32 v[16:17], v[24:25], v[16:17]
	v_pk_fma_f32 v[24:25], v[60:61], s[36:37], v[88:89] op_sel:[1,0,0]
	v_mul_f32_e32 v92, 0xbe3c28d5, v33
	v_pk_add_f32 v[16:17], v[24:25], v[16:17]
	v_mul_f32_e32 v24, 0xbf7ba420, v74
	v_pk_add_f32 v[94:95], v[24:25], v[92:93] neg_lo:[0,1] neg_hi:[0,1]
	v_pk_add_f32 v[24:25], v[24:25], v[92:93]
	v_mul_f32_e32 v92, 0x3eb8f4ab, v35
	v_mov_b32_e32 v95, v24
	v_mul_f32_e32 v24, 0x3f6eb680, v28
	v_pk_add_f32 v[96:97], v[24:25], v[92:93] neg_lo:[0,1] neg_hi:[0,1]
	v_pk_add_f32 v[24:25], v[24:25], v[92:93]
	v_mul_f32_e32 v92, 0xbf59a7d5, v30
	v_mov_b32_e32 v97, v24
	v_pk_add_f32 v[24:25], v[38:39], v[94:95] op_sel_hi:[0,1]
	v_mul_f32_e32 v94, 0xbf06c442, v37
	v_pk_add_f32 v[24:25], v[24:25], v[96:97]
	v_pk_add_f32 v[96:97], v[92:93], v[94:95] neg_lo:[0,1] neg_hi:[0,1]
	v_pk_add_f32 v[92:93], v[92:93], v[94:95]
	v_mul_f32_e32 v94, 0x3f2c7751, v51
	v_mov_b32_e32 v97, v92
	v_mul_f32_e32 v92, 0x3f3d2fb0, v40
	v_pk_add_f32 v[24:25], v[24:25], v[96:97]
	v_pk_add_f32 v[96:97], v[92:93], v[94:95] neg_lo:[0,1] neg_hi:[0,1]
	v_pk_add_f32 v[92:93], v[92:93], v[94:95]
	v_mul_f32_e32 v94, 0xbf4c4adb, v55
	v_mov_b32_e32 v97, v92
	;; [unrolled: 6-line block ×5, first 2 shown]
	v_mul_f32_e32 v92, 0x3dbcf732, v52
	v_pk_add_f32 v[24:25], v[96:97], v[24:25]
	v_pk_add_f32 v[96:97], v[92:93], v[94:95] neg_lo:[0,1] neg_hi:[0,1]
	v_pk_add_f32 v[92:93], v[92:93], v[94:95]
	v_mul_u32_u24_e32 v39, 0x2a8, v39
	v_mov_b32_e32 v97, v92
	v_pk_add_f32 v[24:25], v[96:97], v[24:25]
	s_mov_b32 s38, 0x3eb8f4ab
	v_cmp_gt_u32_e64 s[0:1], 40, v134
	v_lshlrev_b32_e32 v136, 2, v39
	s_and_saveexec_b64 s[34:35], s[0:1]
	s_cbranch_execz .LBB0_14
; %bb.13:
	v_mov_b32_e32 v114, v74
	v_mov_b32_e32 v115, v33
	s_mov_b32 s50, s13
	s_mov_b32 s51, s25
	v_mov_b32_e32 v112, v28
	v_mov_b32_e32 v113, v35
	s_mov_b32 s39, 0xbf65296c
	v_pk_mul_f32 v[116:117], v[114:115], s[50:51]
	s_mov_b32 s54, s31
	s_mov_b32 s55, s29
	v_mov_b32_e32 v110, v30
	v_mov_b32_e32 v111, v37
	v_pk_mul_f32 v[92:93], v[112:113], s[54:55]
	s_mov_b32 s56, s20
	s_mov_b32 s57, s39
	v_mov_b32_e32 v39, v116
	v_mov_b32_e32 v108, v40
	;; [unrolled: 1-line block ×3, first 2 shown]
	s_mov_b32 s40, s13
	s_mov_b32 s43, s13
	;; [unrolled: 1-line block ×4, first 2 shown]
	v_pk_mul_f32 v[94:95], v[110:111], s[56:57]
	s_mov_b32 s13, s24
	v_pk_fma_f32 v[114:115], v[114:115], s[50:51], v[38:39] neg_lo:[1,0,0] neg_hi:[1,0,0]
	v_mov_b32_e32 v39, v92
	v_mov_b32_e32 v106, v42
	;; [unrolled: 1-line block ×3, first 2 shown]
	v_pk_mul_f32 v[96:97], v[108:109], s[12:13]
	s_mov_b32 s60, s21
	s_mov_b32 s61, s36
	v_pk_fma_f32 v[112:113], v[112:113], s[54:55], v[38:39] neg_lo:[1,0,0] neg_hi:[1,0,0]
	v_mov_b32_e32 v39, v94
	v_mov_b32_e32 v102, v44
	;; [unrolled: 1-line block ×3, first 2 shown]
	v_pk_mul_f32 v[98:99], v[106:107], s[60:61]
	s_mov_b32 s62, s15
	s_mov_b32 s63, s9
	v_pk_fma_f32 v[110:111], v[110:111], s[56:57], v[38:39] neg_lo:[1,0,0] neg_hi:[1,0,0]
	v_mov_b32_e32 v39, v96
	v_pk_mul_f32 v[100:101], v[102:103], s[62:63]
	v_pk_fma_f32 v[108:109], v[108:109], s[12:13], v[38:39] neg_lo:[1,0,0] neg_hi:[1,0,0]
	v_mov_b32_e32 v39, v98
	v_mov_b32_e32 v104, v46
	;; [unrolled: 1-line block ×3, first 2 shown]
	s_mov_b32 s42, s15
	s_mov_b32 s45, s15
	;; [unrolled: 1-line block ×5, first 2 shown]
	v_pk_fma_f32 v[118:119], v[106:107], s[60:61], v[38:39] neg_lo:[1,0,0] neg_hi:[1,0,0]
	v_mov_b32_e32 v39, v100
	v_pk_fma_f32 v[120:121], v[102:103], s[62:63], v[38:39] neg_lo:[1,0,0] neg_hi:[1,0,0]
	v_pk_mul_f32 v[102:103], v[104:105], s[14:15]
	v_mov_b32_e32 v106, v52
	v_mov_b32_e32 v39, v102
	;; [unrolled: 1-line block ×3, first 2 shown]
	s_mov_b32 s55, s31
	s_mov_b32 s44, s31
	;; [unrolled: 1-line block ×5, first 2 shown]
	v_pk_fma_f32 v[122:123], v[104:105], s[14:15], v[38:39] neg_lo:[1,0,0] neg_hi:[1,0,0]
	v_pk_mul_f32 v[104:105], v[106:107], s[30:31]
	v_mov_b32_e32 v73, v38
	v_mov_b32_e32 v39, v104
	v_pk_fma_f32 v[124:125], v[106:107], s[30:31], v[38:39] neg_lo:[1,0,0] neg_hi:[1,0,0]
	v_mov_b32_e32 v106, v38
	v_pk_add_f32 v[106:107], v[106:107], v[66:67]
	v_mov_b32_e32 v112, v2
	v_pk_add_f32 v[106:107], v[106:107], v[70:71]
	;; [unrolled: 2-line block ×8, first 2 shown]
	v_add_f32_e32 v4, v117, v116
	v_mov_b32_e32 v107, v115
	v_add_f32_e32 v4, v73, v4
	v_pk_add_f32 v[72:73], v[106:107], v[72:73]
	s_mov_b32 s51, s20
	v_pk_add_f32 v[106:107], v[72:73], v[112:113]
	v_mul_u32_u24_e32 v0, 0x44, v134
	v_pk_add_f32 v[106:107], v[106:107], v[110:111]
	v_mov_b32_e32 v124, v6
	v_pk_add_f32 v[108:109], v[108:109], v[106:107]
	v_mov_b32_e32 v72, v33
	v_pk_add_f32 v[110:111], v[118:119], v[108:109]
	v_mov_b32_e32 v73, v33
	v_pk_add_f32 v[112:113], v[120:121], v[110:111]
	v_mov_b32_e32 v126, v28
	v_pk_add_f32 v[112:113], v[122:123], v[112:113]
	v_mov_b32_e32 v127, v28
	v_pk_mul_f32 v[108:109], v[74:75], s[50:51]
	s_mov_b32 s50, s29
	s_mov_b32 s51, s39
	;; [unrolled: 1-line block ×3, first 2 shown]
	v_add3_u32 v2, 0, v0, v136
	v_pk_add_f32 v[112:113], v[124:125], v[112:113]
	v_mov_b32_e32 v39, v38
	v_mov_b32_e32 v106, v35
	;; [unrolled: 1-line block ×3, first 2 shown]
	v_pk_mul_f32 v[110:111], v[126:127], s[52:53]
	s_mov_b32 s52, s24
	s_mov_b32 s53, s9
	ds_write2_b32 v2, v112, v113 offset1:1
	v_pk_fma_f32 v[112:113], v[72:73], s[50:51], v[108:109] neg_lo:[1,0,0] neg_hi:[1,0,0]
	v_pk_fma_f32 v[114:115], v[106:107], s[52:53], v[110:111] neg_lo:[1,0,0] neg_hi:[1,0,0]
	v_pk_add_f32 v[112:113], v[38:39], v[112:113]
	v_mov_b32_e32 v120, v30
	v_mov_b32_e32 v121, v30
	s_mov_b32 s59, s30
	v_pk_add_f32 v[116:117], v[112:113], v[114:115]
	v_mov_b32_e32 v112, v37
	v_mov_b32_e32 v113, v37
	s_mov_b32 s57, 0x3e3c28d5
	s_mov_b32 s56, s9
	v_pk_mul_f32 v[114:115], v[120:121], s[58:59]
	v_mov_b32_e32 v124, v40
	v_pk_fma_f32 v[118:119], v[112:113], s[56:57], v[114:115] neg_lo:[1,0,0] neg_hi:[1,0,0]
	v_mov_b32_e32 v125, v40
	s_mov_b32 s62, s30
	s_mov_b32 s63, s21
	v_pk_add_f32 v[122:123], v[116:117], v[118:119]
	v_mov_b32_e32 v116, v51
	v_mov_b32_e32 v117, v51
	s_mov_b32 s58, s28
	s_mov_b32 s59, s3
	v_pk_mul_f32 v[118:119], v[124:125], s[62:63]
	s_mov_b32 s60, s14
	v_pk_fma_f32 v[128:129], v[116:117], s[58:59], v[118:119] neg_lo:[1,0,0] neg_hi:[1,0,0]
	s_mov_b32 s63, s26
	v_pk_add_f32 v[122:123], v[122:123], v[128:129]
	v_pk_mul_f32 v[128:129], v[32:33], s[8:9] op_sel:[1,0]
	s_mov_b32 s48, s21
	v_pk_add_f32 v[76:77], v[76:77], v[128:129] neg_lo:[0,1] neg_hi:[0,1]
	v_pk_mul_f32 v[128:129], v[34:35], s[2:3] op_sel:[1,0]
	v_pk_add_f32 v[76:77], v[38:39], v[76:77]
	v_pk_add_f32 v[78:79], v[78:79], v[128:129] neg_lo:[0,1] neg_hi:[0,1]
	s_mov_b32 s64, s3
	v_pk_add_f32 v[76:77], v[76:77], v[78:79]
	v_pk_mul_f32 v[78:79], v[36:37], s[24:25] op_sel:[1,0]
	s_mov_b32 s47, s14
	v_pk_add_f32 v[78:79], v[80:81], v[78:79] neg_lo:[0,1] neg_hi:[0,1]
	v_mov_b32_e32 v80, v42
	v_pk_add_f32 v[76:77], v[76:77], v[78:79]
	v_pk_mul_f32 v[78:79], v[50:51], s[18:19] op_sel:[1,0]
	v_mov_b32_e32 v81, v42
	v_pk_add_f32 v[78:79], v[82:83], v[78:79] neg_lo:[0,1] neg_hi:[0,1]
	v_mov_b32_e32 v132, v61
	v_pk_add_f32 v[76:77], v[76:77], v[78:79]
	v_pk_mul_f32 v[78:79], v[54:55], s[22:23] op_sel:[1,0]
	v_mov_b32_e32 v133, v61
	;; [unrolled: 5-line block ×4, first 2 shown]
	v_pk_add_f32 v[78:79], v[90:91], v[78:79] neg_lo:[0,1] neg_hi:[0,1]
	s_mov_b32 s66, s30
	v_pk_add_f32 v[76:77], v[78:79], v[76:77]
	v_pk_mul_f32 v[78:79], v[60:61], s[36:37] op_sel:[1,0]
	s_mov_b32 s37, 0x3f06c442
	v_pk_add_f32 v[78:79], v[88:89], v[78:79] neg_lo:[0,1] neg_hi:[0,1]
	s_mov_b32 s62, s37
	v_pk_add_f32 v[76:77], v[78:79], v[76:77]
	ds_write2_b32 v2, v77, v76 offset0:6 offset1:7
	v_mov_b32_e32 v76, v55
	v_mov_b32_e32 v77, v55
	v_pk_mul_f32 v[78:79], v[80:81], s[60:61]
	s_mov_b32 s60, s3
	v_pk_fma_f32 v[82:83], v[76:77], s[62:63], v[78:79] neg_lo:[1,0,0] neg_hi:[1,0,0]
	s_mov_b32 s61, s25
	v_pk_mul_f32 v[88:89], v[84:85], s[48:49]
	v_pk_add_f32 v[82:83], v[122:123], v[82:83]
	v_pk_fma_f32 v[90:91], v[86:87], s[60:61], v[88:89] neg_lo:[1,0,0] neg_hi:[1,0,0]
	s_mov_b32 s48, s20
	v_pk_add_f32 v[82:83], v[82:83], v[90:91]
	v_mov_b32_e32 v90, v46
	v_mov_b32_e32 v91, v46
	s_mov_b32 s49, s12
	v_mov_b32_e32 v122, v59
	v_mov_b32_e32 v123, v59
	s_mov_b32 s3, s24
	v_pk_mul_f32 v[128:129], v[90:91], s[48:49]
	s_mov_b32 s48, s38
	v_pk_fma_f32 v[130:131], v[122:123], s[2:3], v[128:129] neg_lo:[1,0,0] neg_hi:[1,0,0]
	s_mov_b32 s49, s8
	v_pk_add_f32 v[82:83], v[130:131], v[82:83]
	v_mov_b32_e32 v130, v52
	v_mov_b32_e32 v131, v52
	v_pk_mul_f32 v[138:139], v[130:131], s[46:47]
	s_mov_b32 s46, s12
	v_pk_fma_f32 v[140:141], v[132:133], s[48:49], v[138:139] neg_lo:[1,0,0] neg_hi:[1,0,0]
	s_mov_b32 s47, s21
	v_pk_add_f32 v[82:83], v[140:141], v[82:83]
	v_pk_mul_f32 v[74:75], v[74:75], s[46:47]
	s_mov_b32 s46, s24
	s_mov_b32 s47, s36
	;; [unrolled: 1-line block ×3, first 2 shown]
	ds_write2_b32 v2, v82, v83 offset0:2 offset1:3
	v_pk_mul_f32 v[82:83], v[126:127], s[66:67]
	s_mov_b32 s36, s28
	v_pk_fma_f32 v[126:127], v[72:73], s[46:47], v[74:75] neg_lo:[1,0,0] neg_hi:[1,0,0]
	s_mov_b32 s54, s21
	v_pk_fma_f32 v[74:75], v[72:73], s[46:47], v[74:75]
	v_pk_fma_f32 v[72:73], v[72:73], s[50:51], v[108:109]
	v_pk_add_f32 v[126:127], v[38:39], v[126:127]
	v_pk_fma_f32 v[140:141], v[106:107], s[36:37], v[82:83] neg_lo:[1,0,0] neg_hi:[1,0,0]
	v_pk_mul_f32 v[120:121], v[120:121], s[54:55]
	s_mov_b32 s65, s26
	s_mov_b32 s41, s20
	v_pk_add_f32 v[74:75], v[38:39], v[74:75]
	v_pk_fma_f32 v[82:83], v[106:107], s[36:37], v[82:83]
	v_pk_add_f32 v[38:39], v[38:39], v[72:73]
	v_pk_fma_f32 v[72:73], v[106:107], s[52:53], v[110:111]
	v_pk_add_f32 v[126:127], v[126:127], v[140:141]
	v_pk_fma_f32 v[140:141], v[112:113], s[64:65], v[120:121] neg_lo:[1,0,0] neg_hi:[1,0,0]
	v_pk_mul_f32 v[124:125], v[124:125], s[40:41]
	s_mov_b32 s21, s30
	v_pk_add_f32 v[74:75], v[74:75], v[82:83]
	v_add_f32_e32 v0, v93, v92
	v_pk_fma_f32 v[82:83], v[112:113], s[64:65], v[120:121]
	v_pk_add_f32 v[38:39], v[38:39], v[72:73]
	v_pk_fma_f32 v[72:73], v[112:113], s[56:57], v[114:115]
	v_pk_add_f32 v[126:127], v[126:127], v[140:141]
	v_pk_fma_f32 v[140:141], v[116:117], s[38:39], v[124:125] neg_lo:[1,0,0] neg_hi:[1,0,0]
	v_pk_mul_f32 v[80:81], v[80:81], s[20:21]
	s_mov_b32 s20, s39
	s_mov_b32 s21, s28
	s_mov_b32 s15, s12
	v_add_f32_e32 v0, v4, v0
	v_add_f32_e32 v4, v95, v94
	v_pk_add_f32 v[74:75], v[74:75], v[82:83]
	v_pk_fma_f32 v[82:83], v[116:117], s[38:39], v[124:125]
	v_pk_add_f32 v[38:39], v[38:39], v[72:73]
	v_pk_fma_f32 v[72:73], v[116:117], s[58:59], v[118:119]
	v_pk_add_f32 v[126:127], v[126:127], v[140:141]
	v_pk_fma_f32 v[140:141], v[76:77], s[20:21], v[80:81] neg_lo:[1,0,0] neg_hi:[1,0,0]
	v_pk_mul_f32 v[84:85], v[84:85], s[14:15]
	s_mov_b32 s22, s8
	v_add_f32_e32 v0, v0, v4
	v_add_f32_e32 v4, v97, v96
	v_pk_add_f32 v[74:75], v[74:75], v[82:83]
	v_pk_fma_f32 v[80:81], v[76:77], s[20:21], v[80:81]
	v_pk_add_f32 v[38:39], v[38:39], v[72:73]
	v_pk_fma_f32 v[72:73], v[76:77], s[62:63], v[78:79]
	v_pk_add_f32 v[126:127], v[126:127], v[140:141]
	v_pk_fma_f32 v[140:141], v[86:87], s[22:23], v[84:85] neg_lo:[1,0,0] neg_hi:[1,0,0]
	v_pk_mul_f32 v[90:91], v[90:91], s[42:43]
	s_mov_b32 s19, s25
	;; [unrolled: 10-line block ×3, first 2 shown]
	v_add_f32_e32 v0, v0, v4
	v_add_f32_e32 v4, v101, v100
	v_pk_add_f32 v[74:75], v[74:75], v[80:81]
	v_pk_fma_f32 v[80:81], v[122:123], s[18:19], v[90:91]
	v_pk_add_f32 v[38:39], v[38:39], v[72:73]
	v_pk_fma_f32 v[72:73], v[122:123], s[2:3], v[128:129]
	v_pk_add_f32 v[126:127], v[140:141], v[126:127]
	v_pk_fma_f32 v[140:141], v[132:133], s[26:27], v[130:131] neg_lo:[1,0,0] neg_hi:[1,0,0]
	v_add_f32_e32 v0, v0, v4
	v_add_f32_e32 v4, v103, v102
	v_pk_add_f32 v[74:75], v[80:81], v[74:75]
	v_pk_fma_f32 v[80:81], v[132:133], s[26:27], v[130:131]
	v_pk_add_f32 v[38:39], v[72:73], v[38:39]
	v_pk_fma_f32 v[72:73], v[132:133], s[48:49], v[138:139]
	v_pk_add_f32 v[126:127], v[140:141], v[126:127]
	v_add_f32_e32 v0, v4, v0
	v_add_f32_e32 v4, v105, v104
	v_pk_add_f32 v[74:75], v[80:81], v[74:75]
	v_pk_add_f32 v[38:39], v[72:73], v[38:39]
	ds_write2_b32 v2, v126, v127 offset0:4 offset1:5
	v_add_f32_e32 v4, v4, v0
	ds_write2_b32 v2, v24, v25 offset0:8 offset1:9
	ds_write2_b32 v2, v16, v17 offset0:10 offset1:11
	;; [unrolled: 1-line block ×3, first 2 shown]
	v_mov_b32_e32 v0, v39
	ds_write2_b32 v2, v39, v38 offset0:14 offset1:15
	ds_write_b32 v2, v4 offset:64
.LBB0_14:
	s_or_b64 exec, exec, s[34:35]
	v_lshlrev_b32_e32 v0, 2, v134
	v_add3_u32 v137, 0, v136, v0
	v_add_u32_e32 v0, 0, v0
	v_add_u32_e32 v138, v0, v136
	;; [unrolled: 1-line block ×4, first 2 shown]
	s_waitcnt lgkmcnt(0)
	s_barrier
	ds_read2_b32 v[74:75], v138 offset0:68 offset1:170
	ds_read2_b32 v[72:73], v2 offset0:110 offset1:212
	;; [unrolled: 1-line block ×3, first 2 shown]
	ds_read_b32 v139, v137
	ds_read_b32 v140, v138 offset:2312
	v_cmp_gt_u32_e64 s[2:3], 34, v134
	s_and_saveexec_b64 s[8:9], s[2:3]
	s_cbranch_execz .LBB0_16
; %bb.15:
	ds_read2_b32 v[24:25], v2 offset0:8 offset1:178
	v_add_u32_e32 v2, 0x700, v138
	ds_read2_b32 v[16:17], v2 offset0:28 offset1:198
.LBB0_16:
	s_or_b64 exec, exec, s[8:9]
	v_pk_add_f32 v[76:77], v[26:27], v[66:67]
	s_mov_b32 s24, 0xbe3c28d5
	v_pk_add_f32 v[70:71], v[76:77], v[70:71]
	s_mov_b32 s20, 0xbf7ba420
	;; [unrolled: 2-line block ×3, first 2 shown]
	v_pk_add_f32 v[64:65], v[68:69], v[64:65]
	v_mov_b32_e32 v6, v49
	v_pk_add_f32 v[62:63], v[64:65], v[62:63]
	s_mov_b32 s14, 0x3f6eb680
	v_mov_b32_e32 v66, v63
	s_mov_b32 s21, 0xbf59a7d5
	v_pk_add_f32 v[132:133], v[66:67], v[6:7]
	s_mov_b32 s31, 0x3f65296c
	v_pk_mul_f32 v[102:103], v[32:33], s[24:25] op_sel_hi:[0,1]
	s_mov_b32 s30, 0x3eb8f4ab
	s_mov_b32 s15, 0x3ee437d1
	v_pk_fma_f32 v[48:49], v[132:133], s[20:21], v[102:103] op_sel:[1,0,0]
	v_pk_fma_f32 v[62:63], v[132:133], s[20:21], v[102:103] op_sel:[1,0,0] neg_lo:[0,0,1] neg_hi:[0,0,1]
	v_pk_mul_f32 v[106:107], v[34:35], s[30:31] op_sel_hi:[0,1]
	v_mov_b32_e32 v49, v63
	v_pk_fma_f32 v[62:63], v[28:29], s[14:15], v[106:107] op_sel:[1,0,0]
	v_pk_fma_f32 v[108:109], v[28:29], s[14:15], v[106:107] op_sel:[1,0,0] neg_lo:[0,0,1] neg_hi:[0,0,1]
	s_mov_b32 s43, 0xbf7ee86f
	s_mov_b32 s42, s25
	;; [unrolled: 1-line block ×3, first 2 shown]
	v_pk_add_f32 v[48:49], v[26:27], v[48:49] op_sel:[1,0]
	v_mov_b32_e32 v63, v109
	s_mov_b32 s22, s21
	v_pk_mul_f32 v[110:111], v[36:37], s[42:43] op_sel_hi:[0,1]
	s_mov_b32 s18, 0x3f3d2fb0
	v_pk_add_f32 v[48:49], v[48:49], v[62:63]
	v_pk_fma_f32 v[62:63], v[30:31], s[22:23], v[110:111] op_sel:[1,0,0]
	v_pk_fma_f32 v[112:113], v[30:31], s[22:23], v[110:111] op_sel:[1,0,0] neg_lo:[0,0,1] neg_hi:[0,0,1]
	s_mov_b32 s37, 0x3f4c4adb
	s_mov_b32 s36, 0x3f2c7751
	;; [unrolled: 1-line block ×4, first 2 shown]
	v_mov_b32_e32 v63, v113
	v_pk_mul_f32 v[114:115], v[50:51], s[36:37] op_sel_hi:[0,1]
	s_mov_b32 s13, 0xbeb8f4ab
	v_pk_add_f32 v[48:49], v[48:49], v[62:63]
	v_pk_fma_f32 v[62:63], v[40:41], s[18:19], v[114:115] op_sel:[1,0,0]
	v_pk_fma_f32 v[116:117], v[40:41], s[18:19], v[114:115] op_sel:[1,0,0] neg_lo:[0,0,1] neg_hi:[0,0,1]
	s_mov_b32 s34, s19
	v_mov_b32_e32 v63, v117
	s_mov_b32 s35, s14
	v_pk_mul_f32 v[118:119], v[54:55], s[12:13] op_sel_hi:[0,1]
	v_pk_add_f32 v[48:49], v[48:49], v[62:63]
	v_pk_fma_f32 v[62:63], v[42:43], s[34:35], v[118:119] op_sel:[1,0,0]
	v_pk_fma_f32 v[120:121], v[42:43], s[34:35], v[118:119] op_sel:[1,0,0] neg_lo:[0,0,1] neg_hi:[0,0,1]
	s_mov_b32 s40, s31
	s_mov_b32 s41, s24
	v_mov_b32_e32 v63, v121
	s_mov_b32 s38, s15
	s_mov_b32 s39, s20
	v_pk_mul_f32 v[122:123], v[56:57], s[40:41] op_sel_hi:[0,1]
	v_pk_add_f32 v[48:49], v[48:49], v[62:63]
	v_pk_fma_f32 v[62:63], v[44:45], s[38:39], v[122:123] op_sel:[1,0,0]
	v_pk_fma_f32 v[124:125], v[44:45], s[38:39], v[122:123] op_sel:[1,0,0] neg_lo:[0,0,1] neg_hi:[0,0,1]
	s_mov_b32 s48, 0xbf763a35
	s_mov_b32 s49, s36
	;; [unrolled: 1-line block ×3, first 2 shown]
	v_mov_b32_e32 v63, v125
	s_mov_b32 s9, s18
	v_pk_mul_f32 v[126:127], v[58:59], s[48:49] op_sel_hi:[0,1]
	s_mov_b32 s28, 0x3f7ee86f
	v_pk_add_f32 v[48:49], v[48:49], v[62:63]
	v_pk_fma_f32 v[62:63], v[46:47], s[8:9], v[126:127] op_sel:[1,0,0]
	v_pk_fma_f32 v[128:129], v[46:47], s[8:9], v[126:127] op_sel:[1,0,0] neg_lo:[0,0,1] neg_hi:[0,0,1]
	s_mov_b32 s29, s48
	v_mov_b32_e32 v63, v129
	s_mov_b32 s44, s23
	s_mov_b32 s45, s8
	v_pk_mul_f32 v[130:131], v[60:61], s[28:29] op_sel_hi:[0,1]
	v_pk_mul_f32 v[100:101], v[132:133], s[20:21] op_sel:[1,0]
	v_pk_add_f32 v[48:49], v[62:63], v[48:49]
	v_pk_fma_f32 v[62:63], v[52:53], s[44:45], v[130:131] op_sel:[1,0,0]
	v_pk_fma_f32 v[142:143], v[52:53], s[44:45], v[130:131] op_sel:[1,0,0] neg_lo:[0,0,1] neg_hi:[0,0,1]
	v_mul_f32_e32 v96, 0xbf4c4adb, v32
	v_mul_f32_e32 v98, 0xbf1a4643, v133
	v_pk_mul_f32 v[104:105], v[28:29], s[14:15] op_sel:[1,0]
	v_mov_b32_e32 v63, v143
	v_mov_b32_e32 v99, v100
	v_mov_b32_e32 v97, v102
	v_mul_f32_e32 v82, 0xbe8c1d8e, v29
	v_mul_f32_e32 v92, 0x3f763a35, v34
	v_pk_mul_f32 v[108:109], v[30:31], s[22:23] op_sel:[1,0]
	v_pk_add_f32 v[48:49], v[62:63], v[48:49]
	v_pk_add_f32 v[62:63], v[98:99], v[96:97] neg_lo:[0,1] neg_hi:[0,1]
	v_mov_b32_e32 v83, v104
	v_mov_b32_e32 v93, v106
	v_mul_f32_e32 v80, 0x3f6eb680, v31
	v_mul_f32_e32 v90, 0xbeb8f4ab, v36
	v_pk_mul_f32 v[112:113], v[40:41], s[18:19] op_sel:[1,0]
	v_pk_add_f32 v[62:63], v[26:27], v[62:63] op_sel:[1,0]
	v_pk_add_f32 v[142:143], v[82:83], v[92:93] neg_lo:[0,1] neg_hi:[0,1]
	v_mov_b32_e32 v81, v108
	v_mov_b32_e32 v91, v110
	v_mul_f32_e32 v76, 0xbf59a7d5, v41
	v_mul_f32_e32 v88, 0xbf06c442, v50
	v_pk_mul_f32 v[116:117], v[42:43], s[34:35] op_sel:[1,0]
	v_pk_add_f32 v[62:63], v[62:63], v[142:143]
	v_pk_add_f32 v[142:143], v[80:81], v[90:91] neg_lo:[0,1] neg_hi:[0,1]
	v_mov_b32_e32 v77, v112
	v_mov_b32_e32 v89, v114
	v_mul_f32_e32 v68, 0x3dbcf732, v43
	v_mul_f32_e32 v78, 0x3f7ee86f, v54
	v_pk_mul_f32 v[120:121], v[44:45], s[38:39] op_sel:[1,0]
	v_pk_add_f32 v[62:63], v[62:63], v[142:143]
	;; [unrolled: 7-line block ×4, first 2 shown]
	v_pk_add_f32 v[142:143], v[64:65], v[70:71] neg_lo:[0,1] neg_hi:[0,1]
	v_mov_b32_e32 v87, v124
	v_mov_b32_e32 v95, v126
	v_mul_f32_e32 v66, 0x3ee437d1, v53
	v_mul_f32_e32 v84, 0x3f65296c, v60
	v_pk_add_f32 v[62:63], v[62:63], v[142:143]
	v_pk_add_f32 v[142:143], v[86:87], v[94:95] neg_lo:[0,1] neg_hi:[0,1]
	v_mov_b32_e32 v67, v128
	v_mov_b32_e32 v85, v130
	v_pk_add_f32 v[62:63], v[142:143], v[62:63]
	v_pk_add_f32 v[142:143], v[66:67], v[84:85] neg_lo:[0,1] neg_hi:[0,1]
	s_mov_b32 s27, 0x3f763a35
	s_mov_b32 s47, 0xbf2c7751
	v_pk_add_f32 v[62:63], v[142:143], v[62:63]
	s_waitcnt lgkmcnt(0)
	s_barrier
	s_and_saveexec_b64 s[40:41], s[0:1]
	s_cbranch_execz .LBB0_18
; %bb.17:
	v_mov_b32_e32 v148, v29
	v_mov_b32_e32 v149, v34
	s_mov_b32 s46, s18
	v_pk_mul_f32 v[150:151], v[148:149], s[46:47]
	s_mov_b32 s1, 0xbf65296c
	v_mov_b32_e32 v65, v150
	v_sub_f32_e32 v6, v150, v151
	v_mov_b32_e32 v150, v31
	v_mov_b32_e32 v151, v36
	s_mov_b32 s0, s15
	v_pk_mul_f32 v[152:153], v[150:151], s[0:1]
	v_pk_fma_f32 v[148:149], v[148:149], s[46:47], v[64:65]
	v_mov_b32_e32 v65, v152
	v_sub_f32_e32 v10, v152, v153
	v_mov_b32_e32 v152, v41
	v_mov_b32_e32 v153, v50
	s_mov_b32 s42, s23
	v_pk_mul_f32 v[154:155], v[152:153], s[42:43]
	v_pk_fma_f32 v[150:151], v[150:151], s[0:1], v[64:65]
	v_mov_b32_e32 v65, v154
	v_sub_f32_e32 v18, v154, v155
	v_mov_b32_e32 v154, v43
	v_mov_b32_e32 v155, v54
	s_mov_b32 s50, s8
	s_mov_b32 s51, s48
	v_mov_b32_e32 v163, 0x3f6eb680
	v_mov_b32_e32 v162, v9
	v_mov_b32_e32 v142, v133
	v_mov_b32_e32 v143, v133
	v_pk_mul_f32 v[156:157], v[154:155], s[50:51]
	v_pk_add_f32 v[8:9], v[132:133], v[162:163]
	v_pk_mul_f32 v[132:133], v[132:133], v[162:163]
	v_pk_fma_f32 v[152:153], v[152:153], s[42:43], v[64:65]
	v_mov_b32_e32 v65, v156
	v_mov_b32_e32 v9, v133
	v_fmac_f32_e32 v133, 0x3eb8f4ab, v32
	v_pk_fma_f32 v[154:155], v[154:155], s[50:51], v[64:65]
	v_sub_f32_e32 v20, v156, v157
	v_mov_b32_e32 v156, v45
	v_mov_b32_e32 v157, v56
	s_mov_b32 s50, s19
	s_mov_b32 s51, s12
	v_mov_b32_e32 v150, v1
	v_add_f32_e32 v1, v27, v133
	v_pk_mul_f32 v[158:159], v[156:157], s[50:51]
	v_add_f32_e32 v1, v1, v6
	v_mul_f32_e32 v147, 0xbeb8f4ab, v32
	v_mov_b32_e32 v65, v158
	v_mov_b32_e32 v146, v5
	v_add_f32_e32 v1, v1, v10
	v_pk_fma_f32 v[156:157], v[156:157], s[50:51], v[64:65]
	v_sub_f32_e32 v22, v158, v159
	v_mov_b32_e32 v158, v47
	v_mov_b32_e32 v159, v58
	s_mov_b32 s50, s21
	s_mov_b32 s51, s25
	v_pk_add_f32 v[4:5], v[8:9], v[146:147]
	v_add_f32_e32 v1, v1, v18
	v_pk_mul_f32 v[160:161], v[158:159], s[50:51]
	v_pk_add_f32 v[4:5], v[4:5], v[26:27]
	v_mov_b32_e32 v148, v3
	v_add_f32_e32 v1, v1, v20
	v_mov_b32_e32 v65, v160
	v_pk_add_f32 v[2:3], v[4:5], v[148:149]
	v_add_f32_e32 v1, v1, v22
	v_sub_f32_e32 v4, v160, v161
	v_pk_fma_f32 v[158:159], v[158:159], s[50:51], v[64:65]
	v_pk_add_f32 v[2:3], v[2:3], v[150:151]
	v_mov_b32_e32 v152, v23
	v_add_f32_e32 v6, v4, v1
	v_mov_b32_e32 v4, v53
	v_mov_b32_e32 v5, v60
	s_mov_b32 s50, s20
	s_mov_b32 s51, s24
	v_pk_add_f32 v[2:3], v[152:153], v[2:3]
	v_mov_b32_e32 v154, v21
	v_pk_mul_f32 v[8:9], v[4:5], s[50:51]
	v_pk_add_f32 v[2:3], v[154:155], v[2:3]
	v_mov_b32_e32 v156, v19
	v_mov_b32_e32 v1, v8
	v_pk_add_f32 v[2:3], v[156:157], v[2:3]
	v_mov_b32_e32 v158, v11
	v_pk_fma_f32 v[4:5], v[4:5], s[50:51], v[0:1]
	v_mov_b32_e32 v33, v32
	v_mov_b32_e32 v57, v56
	v_pk_add_f32 v[2:3], v[158:159], v[2:3]
	v_mov_b32_e32 v4, v7
	s_mov_b32 s0, s47
	s_mov_b32 s60, s27
	;; [unrolled: 1-line block ×3, first 2 shown]
	v_mov_b32_e32 v35, v34
	v_pk_add_f32 v[2:3], v[4:5], v[2:3]
	v_sub_f32_e32 v1, v8, v9
	v_pk_mul_f32 v[4:5], v[32:33], s[0:1]
	s_mov_b32 s50, s43
	s_mov_b32 s51, s12
	v_pk_mul_f32 v[146:147], v[56:57], s[60:61]
	s_mov_b32 s60, s18
	s_mov_b32 s61, s15
	v_mov_b32_e32 v28, v29
	v_mov_b32_e32 v37, v36
	;; [unrolled: 1-line block ×4, first 2 shown]
	v_add_f32_e32 v100, v1, v6
	s_mov_b32 s46, s23
	s_mov_b32 s47, s19
	v_pk_mul_f32 v[6:7], v[34:35], s[50:51]
	s_mov_b32 s53, 0x3e3c28d5
	s_mov_b32 s52, s12
	v_pk_fma_f32 v[150:151], v[142:143], s[60:61], v[4:5]
	v_mov_b32_e32 v30, v31
	v_mov_b32_e32 v51, v50
	v_pk_fma_f32 v[8:9], v[28:29], s[46:47], v[6:7]
	s_mov_b32 s50, s19
	s_mov_b32 s51, s20
	v_pk_mul_f32 v[10:11], v[36:37], s[52:53]
	s_mov_b32 s26, s24
	v_pk_add_f32 v[150:151], v[144:145], v[150:151]
	v_mov_b32_e32 v40, v41
	v_mov_b32_e32 v55, v54
	v_pk_fma_f32 v[18:19], v[30:31], s[50:51], v[10:11]
	s_mov_b32 s52, s20
	s_mov_b32 s53, s8
	v_pk_mul_f32 v[20:21], v[50:51], s[26:27]
	s_mov_b32 s56, 0x3f06c442
	s_mov_b32 s57, s36
	v_pk_add_f32 v[8:9], v[150:151], v[8:9]
	v_mov_b32_e32 v42, v43
	v_pk_fma_f32 v[22:23], v[40:41], s[52:53], v[20:21]
	s_mov_b32 s54, s21
	s_mov_b32 s55, s18
	v_pk_mul_f32 v[26:27], v[54:55], s[56:57]
	v_pk_add_f32 v[8:9], v[8:9], v[18:19]
	v_mov_b32_e32 v44, v45
	v_mov_b32_e32 v59, v58
	v_pk_fma_f32 v[132:133], v[42:43], s[54:55], v[26:27]
	s_mov_b32 s58, s8
	s_mov_b32 s59, s14
	v_pk_add_f32 v[8:9], v[8:9], v[22:23]
	s_mov_b32 s42, s31
	v_pk_fma_f32 v[4:5], v[142:143], s[60:61], v[4:5] neg_lo:[0,0,1] neg_hi:[0,0,1]
	v_mov_b32_e32 v46, v47
	v_pk_fma_f32 v[148:149], v[44:45], s[58:59], v[146:147]
	v_pk_add_f32 v[8:9], v[8:9], v[132:133]
	s_mov_b32 s62, s15
	s_mov_b32 s63, s23
	v_pk_mul_f32 v[18:19], v[58:59], s[42:43]
	v_pk_fma_f32 v[6:7], v[28:29], s[46:47], v[6:7] neg_lo:[0,0,1] neg_hi:[0,0,1]
	v_pk_add_f32 v[4:5], v[144:145], v[4:5]
	v_mov_b32_e32 v61, v60
	v_pk_add_f32 v[8:9], v[8:9], v[148:149]
	v_pk_fma_f32 v[22:23], v[46:47], s[62:63], v[18:19]
	s_mov_b32 s31, s25
	v_pk_fma_f32 v[10:11], v[30:31], s[50:51], v[10:11] neg_lo:[0,0,1] neg_hi:[0,0,1]
	v_pk_add_f32 v[4:5], v[4:5], v[6:7]
	v_mov_b32_e32 v52, v53
	v_pk_add_f32 v[8:9], v[22:23], v[8:9]
	s_mov_b32 s64, s14
	s_mov_b32 s65, s21
	v_pk_mul_f32 v[22:23], v[60:61], s[30:31]
	v_pk_fma_f32 v[20:21], v[40:41], s[52:53], v[20:21] neg_lo:[0,0,1] neg_hi:[0,0,1]
	v_pk_add_f32 v[4:5], v[4:5], v[10:11]
	v_pk_fma_f32 v[132:133], v[52:53], s[64:65], v[22:23]
	v_pk_fma_f32 v[26:27], v[42:43], s[54:55], v[26:27] neg_lo:[0,0,1] neg_hi:[0,0,1]
	v_pk_add_f32 v[4:5], v[4:5], v[20:21]
	v_pk_add_f32 v[8:9], v[132:133], v[8:9]
	v_pk_fma_f32 v[132:133], v[44:45], s[58:59], v[146:147] neg_lo:[0,0,1] neg_hi:[0,0,1]
	v_pk_add_f32 v[4:5], v[4:5], v[26:27]
	v_pk_fma_f32 v[6:7], v[46:47], s[62:63], v[18:19] neg_lo:[0,0,1] neg_hi:[0,0,1]
	v_pk_add_f32 v[4:5], v[4:5], v[132:133]
	s_mov_b32 s42, s43
	v_pk_add_f32 v[4:5], v[6:7], v[4:5]
	v_pk_fma_f32 v[6:7], v[52:53], s[64:65], v[22:23] neg_lo:[0,0,1] neg_hi:[0,0,1]
	s_mov_b32 s43, s48
	v_pk_add_f32 v[4:5], v[6:7], v[4:5]
	v_pk_mul_f32 v[6:7], v[32:33], s[42:43]
	s_mov_b32 s42, s24
	s_mov_b32 s43, s56
	;; [unrolled: 1-line block ×5, first 2 shown]
	v_pk_mul_f32 v[10:11], v[34:35], s[42:43]
	v_pk_mul_f32 v[34:35], v[54:55], s[0:1]
	s_mov_b32 s0, s25
	s_mov_b32 s1, s28
	;; [unrolled: 1-line block ×4, first 2 shown]
	v_pk_mul_f32 v[26:27], v[50:51], s[30:31]
	v_pk_mul_f32 v[50:51], v[56:57], s[0:1]
	v_pk_fma_f32 v[56:57], v[142:143], s[44:45], v[6:7]
	v_pk_fma_f32 v[18:19], v[28:29], s[20:21], v[10:11]
	v_pk_mul_f32 v[20:21], v[36:37], s[26:27]
	v_pk_add_f32 v[56:57], v[144:145], v[56:57]
	v_pk_fma_f32 v[6:7], v[142:143], s[44:45], v[6:7] neg_lo:[0,0,1] neg_hi:[0,0,1]
	v_pk_fma_f32 v[22:23], v[30:31], s[8:9], v[20:21]
	v_pk_add_f32 v[18:19], v[56:57], v[18:19]
	v_pk_fma_f32 v[10:11], v[28:29], s[20:21], v[10:11] neg_lo:[0,0,1] neg_hi:[0,0,1]
	v_pk_add_f32 v[6:7], v[144:145], v[6:7]
	v_pk_fma_f32 v[32:33], v[40:41], s[14:15], v[26:27]
	v_pk_add_f32 v[18:19], v[18:19], v[22:23]
	v_pk_fma_f32 v[20:21], v[30:31], s[8:9], v[20:21] neg_lo:[0,0,1] neg_hi:[0,0,1]
	v_pk_add_f32 v[6:7], v[6:7], v[10:11]
	v_pk_fma_f32 v[36:37], v[42:43], s[38:39], v[34:35]
	v_pk_add_f32 v[18:19], v[18:19], v[32:33]
	s_mov_b32 s0, s37
	s_mov_b32 s1, s13
	v_pk_fma_f32 v[26:27], v[40:41], s[14:15], v[26:27] neg_lo:[0,0,1] neg_hi:[0,0,1]
	v_pk_add_f32 v[6:7], v[6:7], v[20:21]
	v_pk_fma_f32 v[54:55], v[44:45], s[22:23], v[50:51]
	v_pk_add_f32 v[18:19], v[18:19], v[36:37]
	v_pk_mul_f32 v[22:23], v[58:59], s[0:1]
	v_pk_fma_f32 v[28:29], v[42:43], s[38:39], v[34:35] neg_lo:[0,0,1] neg_hi:[0,0,1]
	v_pk_add_f32 v[6:7], v[6:7], v[26:27]
	v_pk_add_f32 v[18:19], v[18:19], v[54:55]
	v_pk_fma_f32 v[32:33], v[46:47], s[34:35], v[22:23]
	s_mov_b32 s37, s12
	v_pk_fma_f32 v[30:31], v[44:45], s[22:23], v[50:51] neg_lo:[0,0,1] neg_hi:[0,0,1]
	v_pk_add_f32 v[6:7], v[6:7], v[28:29]
	v_pk_add_f32 v[18:19], v[32:33], v[18:19]
	v_pk_mul_f32 v[32:33], v[60:61], s[36:37]
	v_pk_add_f32 v[6:7], v[6:7], v[30:31]
	v_pk_fma_f32 v[10:11], v[46:47], s[34:35], v[22:23] neg_lo:[0,0,1] neg_hi:[0,0,1]
	v_mov_b32_e32 v99, v101
	v_pk_add_f32 v[6:7], v[10:11], v[6:7]
	v_pk_fma_f32 v[10:11], v[52:53], s[18:19], v[32:33] neg_lo:[0,0,1] neg_hi:[0,0,1]
	v_mov_b32_e32 v97, v103
	v_pk_add_f32 v[6:7], v[10:11], v[6:7]
	v_pk_add_f32 v[10:11], v[98:99], v[96:97]
	v_mov_b32_e32 v83, v105
	v_mov_b32_e32 v93, v107
	v_pk_add_f32 v[10:11], v[144:145], v[10:11]
	v_pk_add_f32 v[20:21], v[82:83], v[92:93]
	v_mov_b32_e32 v81, v109
	;; [unrolled: 4-line block ×7, first 2 shown]
	v_mov_b32_e32 v85, v131
	v_pk_add_f32 v[10:11], v[20:21], v[10:11]
	v_pk_add_f32 v[20:21], v[66:67], v[84:85]
	v_lshlrev_b32_e32 v1, 6, v134
	v_pk_fma_f32 v[36:37], v[52:53], s[18:19], v[32:33]
	v_pk_add_f32 v[10:11], v[20:21], v[10:11]
	v_add3_u32 v20, v0, v1, v136
	v_pk_add_f32 v[18:19], v[36:37], v[18:19]
	ds_write2_b32 v20, v2, v3 offset1:1
	ds_write2_b32 v20, v8, v9 offset0:2 offset1:3
	ds_write2_b32 v20, v18, v19 offset0:4 offset1:5
	;; [unrolled: 1-line block ×7, first 2 shown]
	ds_write_b32 v20, v100 offset:64
.LBB0_18:
	s_or_b64 exec, exec, s[40:41]
	v_add_u32_e32 v0, 0x200, v138
	v_add_u32_e32 v1, 0x400, v138
	s_waitcnt lgkmcnt(0)
	s_barrier
	ds_read2_b32 v[18:19], v138 offset0:68 offset1:170
	ds_read2_b32 v[22:23], v0 offset0:110 offset1:212
	;; [unrolled: 1-line block ×3, first 2 shown]
	ds_read_b32 v26, v137
	ds_read_b32 v29, v138 offset:2312
	s_and_saveexec_b64 s[0:1], s[2:3]
	s_cbranch_execz .LBB0_20
; %bb.19:
	ds_read2_b32 v[62:63], v0 offset0:8 offset1:178
	v_add_u32_e32 v0, 0x700, v138
	ds_read2_b32 v[0:1], v0 offset0:28 offset1:198
	s_waitcnt lgkmcnt(1)
	v_mov_b32_e32 v48, v62
	s_waitcnt lgkmcnt(0)
	v_mov_b32_e32 v49, v0
	v_mov_b32_e32 v62, v1
.LBB0_20:
	s_or_b64 exec, exec, s[0:1]
	s_movk_i32 s0, 0xf1
	v_mul_lo_u16_sdwa v0, v134, s0 dst_sel:DWORD dst_unused:UNUSED_PAD src0_sel:BYTE_0 src1_sel:DWORD
	v_lshrrev_b16_e32 v30, 12, v0
	v_mul_lo_u16_e32 v0, 17, v30
	v_sub_u16_e32 v31, v134, v0
	v_mov_b32_e32 v0, 3
	v_mul_u32_u24_sdwa v1, v31, v0 dst_sel:DWORD dst_unused:UNUSED_PAD src0_sel:BYTE_0 src1_sel:DWORD
	v_lshlrev_b32_e32 v1, 3, v1
	global_load_dwordx2 v[34:35], v1, s[4:5] offset:16
	global_load_dwordx4 v[4:7], v1, s[4:5]
	v_add_u16_e32 v1, 0x44, v134
	v_mul_lo_u16_sdwa v2, v1, s0 dst_sel:DWORD dst_unused:UNUSED_PAD src0_sel:BYTE_0 src1_sel:DWORD
	v_lshrrev_b16_e32 v33, 12, v2
	v_mul_lo_u16_e32 v2, 17, v33
	v_sub_u16_e32 v42, v1, v2
	v_mul_u32_u24_sdwa v1, v42, v0 dst_sel:DWORD dst_unused:UNUSED_PAD src0_sel:BYTE_0 src1_sel:DWORD
	v_lshlrev_b32_e32 v1, 3, v1
	global_load_dwordx2 v[36:37], v1, s[4:5] offset:16
	global_load_dwordx4 v[8:11], v1, s[4:5]
	v_add_u16_e32 v1, 0x88, v134
	v_mul_lo_u16_sdwa v2, v1, s0 dst_sel:DWORD dst_unused:UNUSED_PAD src0_sel:BYTE_0 src1_sel:DWORD
	v_lshrrev_b16_e32 v27, 12, v2
	v_mul_lo_u16_e32 v2, 17, v27
	v_sub_u16_e32 v28, v1, v2
	v_mul_u32_u24_sdwa v0, v28, v0 dst_sel:DWORD dst_unused:UNUSED_PAD src0_sel:BYTE_0 src1_sel:DWORD
	v_lshlrev_b32_e32 v32, 3, v0
	global_load_dwordx4 v[0:3], v32, s[4:5]
	global_load_dwordx2 v[40:41], v32, s[4:5] offset:16
	s_movk_i32 s8, 0x110
	v_mov_b32_e32 v32, 2
	v_mad_u32_u24 v30, v30, s8, 0
	v_mad_u32_u24 v33, v33, s8, 0
	v_lshlrev_b32_sdwa v31, v32, v31 dst_sel:DWORD dst_unused:UNUSED_PAD src0_sel:DWORD src1_sel:BYTE_0
	v_lshlrev_b32_sdwa v42, v32, v42 dst_sel:DWORD dst_unused:UNUSED_PAD src0_sel:DWORD src1_sel:BYTE_0
	v_add3_u32 v31, v30, v31, v136
	v_add3_u32 v30, v33, v42, v136
	s_waitcnt lgkmcnt(0)
	s_barrier
	s_waitcnt vmcnt(5)
	v_mul_f32_e32 v44, v21, v35
	s_waitcnt vmcnt(4)
	v_mul_f32_e32 v42, v19, v5
	v_mul_f32_e32 v33, v75, v5
	;; [unrolled: 1-line block ×4, first 2 shown]
	v_fma_f32 v42, v75, v4, -v42
	v_fmac_f32_e32 v33, v19, v4
	v_fma_f32 v4, v73, v6, -v43
	s_waitcnt vmcnt(3)
	v_mul_f32_e32 v46, v29, v37
	s_waitcnt vmcnt(2)
	v_mul_f32_e32 v45, v22, v9
	v_mul_f32_e32 v5, v72, v9
	;; [unrolled: 1-line block ×4, first 2 shown]
	v_fma_f32 v19, v39, v34, -v44
	v_fmac_f32_e32 v35, v21, v34
	v_fma_f32 v34, v72, v8, -v45
	s_waitcnt vmcnt(1)
	v_mul_f32_e32 v47, v63, v1
	v_mul_f32_e32 v1, v25, v1
	v_fmac_f32_e32 v5, v22, v8
	v_fma_f32 v8, v38, v10, -v9
	v_fma_f32 v22, v140, v36, -v46
	s_waitcnt vmcnt(0)
	v_mul_f32_e32 v50, v62, v41
	v_mul_f32_e32 v41, v17, v41
	v_fmac_f32_e32 v37, v29, v36
	v_fma_f32 v21, v25, v0, -v47
	v_fmac_f32_e32 v1, v63, v0
	v_sub_f32_e32 v25, v139, v4
	v_sub_f32_e32 v4, v42, v19
	;; [unrolled: 1-line block ×4, first 2 shown]
	v_fma_f32 v17, v17, v40, -v50
	v_fmac_f32_e32 v41, v62, v40
	v_sub_f32_e32 v9, v33, v35
	v_sub_f32_e32 v8, v5, v37
	v_fma_f32 v22, v139, 2.0, -v25
	v_fma_f32 v35, v42, 2.0, -v4
	;; [unrolled: 1-line block ×4, first 2 shown]
	v_sub_f32_e32 v17, v21, v17
	v_sub_f32_e32 v19, v1, v41
	;; [unrolled: 1-line block ×6, first 2 shown]
	v_fma_f32 v25, v25, 2.0, -v36
	v_fma_f32 v29, v29, 2.0, -v39
	;; [unrolled: 1-line block ×4, first 2 shown]
	ds_write2_b32 v31, v35, v36 offset0:34 offset1:51
	ds_write2_b32 v31, v22, v25 offset1:17
	ds_write2_b32 v30, v37, v29 offset1:17
	ds_write2_b32 v30, v34, v39 offset0:34 offset1:51
	s_and_saveexec_b64 s[0:1], s[2:3]
	s_cbranch_execz .LBB0_22
; %bb.21:
	v_mul_f32_e32 v22, v49, v3
	v_fma_f32 v22, v16, v2, -v22
	v_sub_f32_e32 v22, v24, v22
	v_sub_f32_e32 v25, v22, v19
	v_fma_f32 v29, v22, 2.0, -v25
	v_fma_f32 v22, v24, 2.0, -v22
	;; [unrolled: 1-line block ×3, first 2 shown]
	v_sub_f32_e32 v21, v22, v21
	v_mad_u32_u24 v24, v27, s8, 0
	v_lshlrev_b32_sdwa v32, v32, v28 dst_sel:DWORD dst_unused:UNUSED_PAD src0_sel:DWORD src1_sel:BYTE_0
	v_fma_f32 v22, v22, 2.0, -v21
	v_add3_u32 v24, v24, v32, v136
	ds_write2_b32 v24, v22, v29 offset1:17
	ds_write2_b32 v24, v21, v25 offset0:34 offset1:51
.LBB0_22:
	s_or_b64 exec, exec, s[0:1]
	v_mul_f32_e32 v7, v73, v7
	v_fmac_f32_e32 v7, v23, v6
	v_mul_f32_e32 v6, v38, v11
	v_fmac_f32_e32 v6, v20, v10
	v_sub_f32_e32 v7, v26, v7
	v_fma_f32 v10, v26, 2.0, -v7
	v_fma_f32 v9, v33, 2.0, -v9
	v_add_f32_e32 v22, v7, v4
	v_sub_f32_e32 v4, v18, v6
	v_sub_f32_e32 v20, v10, v9
	v_add_f32_e32 v26, v4, v0
	v_add_u32_e32 v0, 0x200, v138
	v_fma_f32 v21, v10, 2.0, -v20
	v_fma_f32 v6, v18, 2.0, -v4
	;; [unrolled: 1-line block ×3, first 2 shown]
	s_waitcnt lgkmcnt(0)
	s_barrier
	ds_read2_b32 v[10:11], v0 offset0:76 offset1:144
	v_add_u32_e32 v0, 0x400, v138
	v_sub_f32_e32 v24, v6, v5
	ds_read2_b32 v[8:9], v0 offset0:84 offset1:152
	v_add_u32_e32 v0, 0x600, v138
	v_fma_f32 v23, v7, 2.0, -v22
	v_fma_f32 v25, v6, 2.0, -v24
	;; [unrolled: 1-line block ×3, first 2 shown]
	ds_read2_b32 v[4:5], v138 offset0:68 offset1:136
	ds_read2_b32 v[6:7], v0 offset0:92 offset1:160
	ds_read_b32 v0, v137
	ds_read_b32 v18, v138 offset:2448
	s_waitcnt lgkmcnt(0)
	s_barrier
	ds_write2_b32 v31, v21, v23 offset1:17
	ds_write2_b32 v31, v20, v22 offset0:34 offset1:51
	ds_write2_b32 v30, v25, v29 offset1:17
	ds_write2_b32 v30, v24, v26 offset0:34 offset1:51
	s_and_saveexec_b64 s[0:1], s[2:3]
	s_cbranch_execz .LBB0_24
; %bb.23:
	v_mul_f32_e32 v3, v16, v3
	v_fmac_f32_e32 v3, v49, v2
	v_sub_f32_e32 v2, v48, v3
	v_fma_f32 v3, v48, 2.0, -v2
	v_fma_f32 v1, v1, 2.0, -v19
	s_movk_i32 s2, 0x110
	v_mov_b32_e32 v19, 2
	v_sub_f32_e32 v1, v3, v1
	v_add_f32_e32 v16, v2, v17
	v_mad_u32_u24 v17, v27, s2, 0
	v_lshlrev_b32_sdwa v19, v19, v28 dst_sel:DWORD dst_unused:UNUSED_PAD src0_sel:DWORD src1_sel:BYTE_0
	v_fma_f32 v3, v3, 2.0, -v1
	v_fma_f32 v2, v2, 2.0, -v16
	v_add3_u32 v17, v17, v19, v136
	ds_write2_b32 v17, v3, v2 offset1:17
	ds_write2_b32 v17, v1, v16 offset0:34 offset1:51
.LBB0_24:
	s_or_b64 exec, exec, s[0:1]
	s_waitcnt lgkmcnt(0)
	s_barrier
	s_and_saveexec_b64 s[0:1], vcc
	s_cbranch_execz .LBB0_26
; %bb.25:
	v_mul_lo_u32 v1, s7, v14
	v_mul_lo_u32 v15, s6, v15
	v_mad_u64_u32 v[2:3], s[0:1], s6, v14, 0
	v_mad_u64_u32 v[16:17], s[0:1], s16, v135, 0
	v_add3_u32 v3, v3, v15, v1
	v_mov_b32_e32 v20, v17
	v_mad_u64_u32 v[20:21], s[0:1], s17, v135, v[20:21]
	v_lshl_add_u64 v[2:3], v[2:3], 3, s[10:11]
	v_mul_u32_u24_e32 v1, 9, v134
	v_mov_b32_e32 v17, v20
	v_lshl_add_u64 v[48:49], v[12:13], 3, v[2:3]
	v_lshlrev_b32_e32 v19, 3, v1
	v_add_u32_e32 v1, 0x200, v138
	v_lshl_add_u64 v[2:3], v[16:17], 3, v[48:49]
	v_add_u32_e32 v17, 0x44, v135
	ds_read2_b32 v[42:43], v1 offset0:76 offset1:144
	v_add_u32_e32 v1, 0x600, v138
	v_mad_u64_u32 v[12:13], s[0:1], s16, v17, 0
	ds_read2_b32 v[24:25], v1 offset0:92 offset1:160
	v_add_u32_e32 v1, 0x400, v138
	v_mov_b32_e32 v16, v13
	ds_read2_b32 v[14:15], v138 offset0:68 offset1:136
	ds_read2_b32 v[44:45], v1 offset0:84 offset1:152
	ds_read_b32 v1, v137
	ds_read_b32 v46, v138 offset:2448
	global_load_dwordx4 v[26:29], v19, s[4:5] offset:424
	v_mad_u64_u32 v[16:17], s[0:1], s17, v17, v[16:17]
	v_add_u32_e32 v21, 0x88, v135
	v_mov_b32_e32 v13, v16
	v_mad_u64_u32 v[16:17], s[0:1], s16, v21, 0
	global_load_dwordx4 v[30:33], v19, s[4:5] offset:456
	global_load_dwordx4 v[34:37], v19, s[4:5] offset:440
	v_mov_b32_e32 v20, v17
	v_mad_u64_u32 v[20:21], s[0:1], s17, v21, v[20:21]
	v_add_u32_e32 v23, 0xcc, v135
	v_mov_b32_e32 v17, v20
	global_load_dwordx4 v[38:41], v19, s[4:5] offset:408
	v_mad_u64_u32 v[20:21], s[0:1], s16, v23, 0
	v_mov_b32_e32 v22, v21
	v_mad_u64_u32 v[22:23], s[0:1], s17, v23, v[22:23]
	v_add_u32_e32 v47, 0x110, v135
	v_mov_b32_e32 v21, v22
	v_mad_u64_u32 v[22:23], s[0:1], s16, v47, 0
	v_mov_b32_e32 v50, v23
	v_mad_u64_u32 v[50:51], s[0:1], s17, v47, v[50:51]
	v_mov_b32_e32 v23, v50
	global_load_dwordx2 v[50:51], v19, s[4:5] offset:472
	v_add_u32_e32 v47, 0x154, v135
	v_mad_u64_u32 v[52:53], s[0:1], s16, v47, 0
	v_mov_b32_e32 v54, v53
	v_mad_u64_u32 v[54:55], s[0:1], s17, v47, v[54:55]
	v_add_u32_e32 v19, 0x198, v135
	v_mov_b32_e32 v53, v54
	v_mad_u64_u32 v[54:55], s[0:1], s16, v19, 0
	v_mov_b32_e32 v56, v55
	v_mad_u64_u32 v[56:57], s[0:1], s17, v19, v[56:57]
	v_add_u32_e32 v19, 0x1dc, v135
	v_mov_b32_e32 v55, v56
	;; [unrolled: 5-line block ×4, first 2 shown]
	v_mad_u64_u32 v[60:61], s[0:1], s16, v19, 0
	v_mov_b32_e32 v62, v61
	v_mad_u64_u32 v[62:63], s[0:1], s17, v19, v[62:63]
	v_mov_b32_e32 v61, v62
	s_waitcnt lgkmcnt(5)
	v_mov_b32_e32 v64, v43
	v_lshl_add_u64 v[12:13], v[12:13], 3, v[48:49]
	v_lshl_add_u64 v[16:17], v[16:17], 3, v[48:49]
	;; [unrolled: 1-line block ×9, first 2 shown]
	v_mov_b32_e32 v60, v11
	v_mov_b32_e32 v62, v11
	s_mov_b32 s4, 0x3f737871
	s_mov_b32 s2, 0x3f167918
	;; [unrolled: 1-line block ×5, first 2 shown]
	s_waitcnt vmcnt(4)
	v_mov_b32_e32 v66, v29
	v_mov_b32_e32 v67, v28
	v_pk_mul_f32 v[64:65], v[64:65], v[66:67] op_sel_hi:[0,1]
	v_pk_fma_f32 v[60:61], v[60:61], v[28:29], v[64:65] neg_lo:[0,0,1] neg_hi:[0,0,1]
	v_pk_fma_f32 v[28:29], v[62:63], v[28:29], v[64:65] op_sel_hi:[0,1,1]
	s_waitcnt lgkmcnt(2)
	v_mov_b32_e32 v64, v45
	v_mov_b32_e32 v28, v9
	s_waitcnt vmcnt(2)
	v_mov_b32_e32 v66, v37
	v_mov_b32_e32 v67, v36
	;; [unrolled: 1-line block ×3, first 2 shown]
	v_pk_mul_f32 v[64:65], v[64:65], v[66:67] op_sel_hi:[0,1]
	v_mov_b32_e32 v61, v29
	v_pk_fma_f32 v[28:29], v[28:29], v[36:37], v[64:65] neg_lo:[0,0,1] neg_hi:[0,0,1]
	v_pk_fma_f32 v[36:37], v[62:63], v[36:37], v[64:65] op_sel_hi:[0,1,1]
	v_mov_b32_e32 v64, v15
	s_waitcnt vmcnt(1)
	v_mov_b32_e32 v66, v41
	v_mov_b32_e32 v67, v40
	;; [unrolled: 1-line block ×4, first 2 shown]
	v_pk_mul_f32 v[64:65], v[64:65], v[66:67] op_sel_hi:[0,1]
	v_mov_b32_e32 v29, v37
	v_pk_fma_f32 v[36:37], v[36:37], v[40:41], v[64:65] neg_lo:[0,0,1] neg_hi:[0,0,1]
	v_pk_fma_f32 v[40:41], v[62:63], v[40:41], v[64:65] op_sel_hi:[0,1,1]
	v_mov_b32_e32 v64, v25
	v_mov_b32_e32 v66, v33
	;; [unrolled: 1-line block ×5, first 2 shown]
	v_pk_mul_f32 v[64:65], v[64:65], v[66:67] op_sel_hi:[0,1]
	v_mov_b32_e32 v37, v41
	v_pk_fma_f32 v[40:41], v[40:41], v[32:33], v[64:65] neg_lo:[0,0,1] neg_hi:[0,0,1]
	v_pk_fma_f32 v[32:33], v[62:63], v[32:33], v[64:65] op_sel_hi:[0,1,1]
	v_pk_mul_f32 v[10:11], v[10:11], v[26:27] op_sel_hi:[0,1]
	v_mov_b32_e32 v41, v33
	v_pk_fma_f32 v[32:33], v[42:43], v[26:27], v[10:11] op_sel:[0,0,1] op_sel_hi:[1,1,0]
	v_pk_fma_f32 v[10:11], v[42:43], v[26:27], v[10:11] op_sel:[0,0,1] op_sel_hi:[0,1,0] neg_lo:[1,0,0] neg_hi:[1,0,0]
	v_mov_b32_e32 v33, v11
	s_waitcnt vmcnt(0)
	v_pk_mul_f32 v[10:11], v[18:19], v[50:51] op_sel_hi:[0,1]
	s_waitcnt lgkmcnt(0)
	v_pk_fma_f32 v[18:19], v[46:47], v[50:51], v[10:11] op_sel:[0,0,1] op_sel_hi:[1,1,0]
	v_pk_fma_f32 v[10:11], v[46:47], v[50:51], v[10:11] op_sel:[0,0,1] op_sel_hi:[0,1,0] neg_lo:[1,0,0] neg_hi:[1,0,0]
	v_pk_mul_f32 v[8:9], v[8:9], v[34:35] op_sel_hi:[0,1]
	v_mov_b32_e32 v19, v11
	v_pk_fma_f32 v[10:11], v[44:45], v[34:35], v[8:9] op_sel:[0,0,1] op_sel_hi:[1,1,0]
	v_pk_fma_f32 v[8:9], v[44:45], v[34:35], v[8:9] op_sel:[0,0,1] op_sel_hi:[0,1,0] neg_lo:[1,0,0] neg_hi:[1,0,0]
	v_pk_mul_f32 v[6:7], v[6:7], v[30:31] op_sel_hi:[0,1]
	v_mov_b32_e32 v11, v9
	;; [unrolled: 4-line block ×3, first 2 shown]
	v_pk_fma_f32 v[30:31], v[14:15], v[38:39], v[4:5] op_sel:[0,0,1] op_sel_hi:[1,1,0]
	v_pk_fma_f32 v[4:5], v[14:15], v[38:39], v[4:5] op_sel:[0,0,1] op_sel_hi:[0,1,0] neg_lo:[1,0,0] neg_hi:[1,0,0]
	v_mov_b32_e32 v31, v5
	v_pk_add_f32 v[4:5], v[10:11], v[8:9]
	v_pk_add_f32 v[66:67], v[10:11], v[32:33] neg_lo:[0,1] neg_hi:[0,1]
	v_pk_add_f32 v[68:69], v[8:9], v[18:19] neg_lo:[0,1] neg_hi:[0,1]
	;; [unrolled: 1-line block ×5, first 2 shown]
	v_pk_fma_f32 v[4:5], v[4:5], 0.5, v[30:31] op_sel_hi:[1,0,1] neg_lo:[1,0,0] neg_hi:[1,0,0]
	v_pk_add_f32 v[66:67], v[66:67], v[68:69]
	v_pk_add_f32 v[68:69], v[32:33], v[18:19]
	;; [unrolled: 1-line block ×3, first 2 shown]
	v_pk_add_f32 v[24:25], v[10:11], v[8:9] neg_lo:[0,1] neg_hi:[0,1]
	v_pk_fma_f32 v[14:15], v[26:27], s[4:5], v[4:5] op_sel:[1,0,0] op_sel_hi:[0,0,1]
	v_pk_fma_f32 v[4:5], v[26:27], s[4:5], v[4:5] op_sel:[1,0,0] op_sel_hi:[0,0,1] neg_lo:[1,0,0] neg_hi:[1,0,0]
	v_pk_fma_f32 v[68:69], v[68:69], 0.5, v[30:31] op_sel_hi:[1,0,1] neg_lo:[1,0,0] neg_hi:[1,0,0]
	v_pk_fma_f32 v[4:5], v[24:25], s[2:3], v[4:5] op_sel:[1,0,0] op_sel_hi:[0,0,1] neg_lo:[1,0,0] neg_hi:[1,0,0]
	v_pk_fma_f32 v[14:15], v[24:25], s[2:3], v[14:15] op_sel:[1,0,0] op_sel_hi:[0,0,1]
	v_pk_add_f32 v[44:45], v[60:61], v[28:29]
	v_pk_fma_f32 v[70:71], v[24:25], s[4:5], v[68:69] op_sel:[1,0,0] op_sel_hi:[0,0,1] neg_lo:[1,0,0] neg_hi:[1,0,0]
	v_pk_fma_f32 v[24:25], v[24:25], s[4:5], v[68:69] op_sel:[1,0,0] op_sel_hi:[0,0,1]
	v_pk_add_f32 v[38:39], v[36:37], v[40:41] neg_lo:[0,1] neg_hi:[0,1]
	v_pk_fma_f32 v[44:45], v[44:45], 0.5, v[0:1] op_sel_hi:[1,0,1] neg_lo:[1,0,0] neg_hi:[1,0,0]
	v_pk_add_f32 v[46:47], v[36:37], v[60:61] neg_lo:[0,1] neg_hi:[0,1]
	v_pk_add_f32 v[50:51], v[40:41], v[28:29] neg_lo:[0,1] neg_hi:[0,1]
	v_pk_fma_f32 v[24:25], v[26:27], s[2:3], v[24:25] op_sel:[1,0,0] op_sel_hi:[0,0,1] neg_lo:[1,0,0] neg_hi:[1,0,0]
	v_pk_fma_f32 v[26:27], v[26:27], s[2:3], v[70:71] op_sel:[1,0,0] op_sel_hi:[0,0,1]
	v_pk_add_f32 v[70:71], v[36:37], v[40:41]
	v_pk_add_f32 v[42:43], v[60:61], v[28:29] neg_lo:[0,1] neg_hi:[0,1]
	v_pk_add_f32 v[46:47], v[46:47], v[50:51]
	v_pk_fma_f32 v[50:51], v[38:39], s[4:5], v[44:45] op_sel:[1,0,0] op_sel_hi:[0,0,1] neg_lo:[1,0,0] neg_hi:[1,0,0]
	v_pk_fma_f32 v[44:45], v[38:39], s[4:5], v[44:45] op_sel:[1,0,0] op_sel_hi:[0,0,1]
	v_pk_fma_f32 v[70:71], v[70:71], 0.5, v[0:1] op_sel_hi:[1,0,1] neg_lo:[1,0,0] neg_hi:[1,0,0]
	v_pk_add_f32 v[72:73], v[60:61], v[36:37] neg_lo:[0,1] neg_hi:[0,1]
	v_pk_add_f32 v[74:75], v[28:29], v[40:41] neg_lo:[0,1] neg_hi:[0,1]
	v_pk_add_f32 v[0:1], v[0:1], v[36:37]
	v_pk_fma_f32 v[44:45], v[42:43], s[2:3], v[44:45] op_sel:[1,0,0] op_sel_hi:[0,0,1]
	v_pk_fma_f32 v[50:51], v[42:43], s[2:3], v[50:51] op_sel:[1,0,0] op_sel_hi:[0,0,1] neg_lo:[1,0,0] neg_hi:[1,0,0]
	v_mov_b32_e32 v69, v25
	v_pk_add_f32 v[72:73], v[72:73], v[74:75]
	v_pk_fma_f32 v[74:75], v[42:43], s[4:5], v[70:71] op_sel:[1,0,0] op_sel_hi:[0,0,1]
	v_pk_fma_f32 v[42:43], v[42:43], s[4:5], v[70:71] op_sel:[1,0,0] op_sel_hi:[0,0,1] neg_lo:[1,0,0] neg_hi:[1,0,0]
	v_mov_b32_e32 v25, v27
	v_pk_add_f32 v[0:1], v[0:1], v[60:61]
	v_mov_b32_e32 v35, v5
	v_pk_fma_f32 v[42:43], v[38:39], s[2:3], v[42:43] op_sel:[1,0,0] op_sel_hi:[0,0,1]
	v_pk_fma_f32 v[38:39], v[38:39], s[2:3], v[74:75] op_sel:[1,0,0] op_sel_hi:[0,0,1] neg_lo:[1,0,0] neg_hi:[1,0,0]
	v_pk_fma_f32 v[24:25], v[66:67], s[0:1], v[24:25] op_sel_hi:[1,0,1]
	v_mov_b32_e32 v5, v15
	v_pk_add_f32 v[0:1], v[0:1], v[28:29]
	v_pk_add_f32 v[28:29], v[32:33], v[30:31]
	v_mov_b32_e32 v70, v38
	v_mov_b32_e32 v71, v43
	;; [unrolled: 1-line block ×3, first 2 shown]
	v_pk_mul_f32 v[38:39], v[24:25], s[4:5] op_sel_hi:[1,0]
	v_pk_fma_f32 v[4:5], v[6:7], s[0:1], v[4:5] op_sel_hi:[1,0,1]
	v_pk_add_f32 v[10:11], v[10:11], v[28:29]
	v_mov_b32_e32 v34, v14
	s_mov_b32 s6, 0x3f4f1bbd
	v_mov_b32_e32 v68, v26
	v_pk_fma_f32 v[26:27], v[72:73], s[0:1], v[42:43] op_sel_hi:[1,0,1]
	v_pk_fma_f32 v[42:43], v[24:25], s[0:1], v[38:39] op_sel:[0,0,1] op_sel_hi:[1,0,0]
	v_pk_mul_f32 v[14:15], v[4:5], s[2:3] op_sel_hi:[1,0]
	v_pk_add_f32 v[8:9], v[8:9], v[10:11]
	v_mov_b32_e32 v63, v45
	v_pk_fma_f32 v[24:25], v[24:25], s[0:1], v[38:39] op_sel:[0,0,1] op_sel_hi:[1,0,0] neg_lo:[0,0,1] neg_hi:[0,0,1]
	v_mov_b32_e32 v38, v43
	v_mov_b32_e32 v45, v51
	v_pk_fma_f32 v[42:43], v[4:5], s[6:7], v[14:15] op_sel:[0,0,1] op_sel_hi:[1,0,0]
	v_pk_fma_f32 v[4:5], v[4:5], s[6:7], v[14:15] op_sel:[0,0,1] op_sel_hi:[1,0,0] neg_lo:[0,0,1] neg_hi:[0,0,1]
	v_pk_add_f32 v[0:1], v[40:41], v[0:1]
	v_pk_add_f32 v[8:9], v[18:19], v[8:9]
	v_pk_fma_f32 v[34:35], v[6:7], s[0:1], v[34:35] op_sel_hi:[1,0,1]
	v_pk_fma_f32 v[68:69], v[66:67], s[0:1], v[68:69] op_sel_hi:[1,0,1]
	v_pk_fma_f32 v[6:7], v[46:47], s[0:1], v[44:45] op_sel_hi:[1,0,1]
	v_mov_b32_e32 v14, v43
	v_mov_b32_e32 v15, v4
	v_pk_add_f32 v[10:11], v[0:1], v[8:9] op_sel:[0,1] op_sel_hi:[1,0] neg_lo:[0,1] neg_hi:[0,1]
	v_pk_add_f32 v[0:1], v[0:1], v[8:9] op_sel:[0,1] op_sel_hi:[1,0]
	v_pk_mul_f32 v[74:75], v[68:69], s[0:1] op_sel_hi:[1,0]
	v_mov_b32_e32 v39, v24
	global_store_dwordx2 v[2:3], v[0:1], off
	v_pk_add_f32 v[0:1], v[6:7], v[14:15]
	v_mov_b32_e32 v62, v50
	v_pk_mul_f32 v[64:65], v[34:35], s[6:7] op_sel_hi:[1,0]
	v_pk_fma_f32 v[70:71], v[72:73], s[0:1], v[70:71] op_sel_hi:[1,0,1]
	v_pk_fma_f32 v[68:69], v[68:69], s[4:5], v[74:75] op_sel:[0,0,1] op_sel_hi:[1,1,0] neg_lo:[0,0,1] neg_hi:[0,0,1]
	global_store_dwordx2 v[12:13], v[0:1], off
	v_pk_add_f32 v[0:1], v[26:27], v[38:39]
	v_pk_fma_f32 v[62:63], v[46:47], s[0:1], v[62:63] op_sel_hi:[1,0,1]
	v_pk_fma_f32 v[34:35], v[34:35], s[2:3], v[64:65] op_sel:[0,0,1] op_sel_hi:[1,1,0] neg_lo:[0,0,1] neg_hi:[0,0,1]
	global_store_dwordx2 v[16:17], v[0:1], off
	v_pk_add_f32 v[0:1], v[70:71], v[68:69]
	global_store_dwordx2 v[20:21], v[0:1], off
	v_pk_add_f32 v[0:1], v[62:63], v[34:35]
	v_pk_add_f32 v[64:65], v[62:63], v[34:35] neg_lo:[0,1] neg_hi:[0,1]
	v_pk_add_f32 v[74:75], v[70:71], v[68:69] neg_lo:[0,1] neg_hi:[0,1]
	;; [unrolled: 1-line block ×4, first 2 shown]
	global_store_dwordx2 v[22:23], v[0:1], off
	global_store_dwordx2 v[52:53], v[10:11], off
	;; [unrolled: 1-line block ×6, first 2 shown]
.LBB0_26:
	s_endpgm
	.section	.rodata,"a",@progbits
	.p2align	6, 0x0
	.amdhsa_kernel fft_rtc_fwd_len680_factors_17_4_10_wgs_204_tpt_68_halfLds_sp_op_CI_CI_sbrr_dirReg
		.amdhsa_group_segment_fixed_size 0
		.amdhsa_private_segment_fixed_size 0
		.amdhsa_kernarg_size 104
		.amdhsa_user_sgpr_count 2
		.amdhsa_user_sgpr_dispatch_ptr 0
		.amdhsa_user_sgpr_queue_ptr 0
		.amdhsa_user_sgpr_kernarg_segment_ptr 1
		.amdhsa_user_sgpr_dispatch_id 0
		.amdhsa_user_sgpr_kernarg_preload_length 0
		.amdhsa_user_sgpr_kernarg_preload_offset 0
		.amdhsa_user_sgpr_private_segment_size 0
		.amdhsa_uses_dynamic_stack 0
		.amdhsa_enable_private_segment 0
		.amdhsa_system_sgpr_workgroup_id_x 1
		.amdhsa_system_sgpr_workgroup_id_y 0
		.amdhsa_system_sgpr_workgroup_id_z 0
		.amdhsa_system_sgpr_workgroup_info 0
		.amdhsa_system_vgpr_workitem_id 0
		.amdhsa_next_free_vgpr 164
		.amdhsa_next_free_sgpr 68
		.amdhsa_accum_offset 164
		.amdhsa_reserve_vcc 1
		.amdhsa_float_round_mode_32 0
		.amdhsa_float_round_mode_16_64 0
		.amdhsa_float_denorm_mode_32 3
		.amdhsa_float_denorm_mode_16_64 3
		.amdhsa_dx10_clamp 1
		.amdhsa_ieee_mode 1
		.amdhsa_fp16_overflow 0
		.amdhsa_tg_split 0
		.amdhsa_exception_fp_ieee_invalid_op 0
		.amdhsa_exception_fp_denorm_src 0
		.amdhsa_exception_fp_ieee_div_zero 0
		.amdhsa_exception_fp_ieee_overflow 0
		.amdhsa_exception_fp_ieee_underflow 0
		.amdhsa_exception_fp_ieee_inexact 0
		.amdhsa_exception_int_div_zero 0
	.end_amdhsa_kernel
	.text
.Lfunc_end0:
	.size	fft_rtc_fwd_len680_factors_17_4_10_wgs_204_tpt_68_halfLds_sp_op_CI_CI_sbrr_dirReg, .Lfunc_end0-fft_rtc_fwd_len680_factors_17_4_10_wgs_204_tpt_68_halfLds_sp_op_CI_CI_sbrr_dirReg
                                        ; -- End function
	.section	.AMDGPU.csdata,"",@progbits
; Kernel info:
; codeLenInByte = 10516
; NumSgprs: 74
; NumVgprs: 164
; NumAgprs: 0
; TotalNumVgprs: 164
; ScratchSize: 0
; MemoryBound: 0
; FloatMode: 240
; IeeeMode: 1
; LDSByteSize: 0 bytes/workgroup (compile time only)
; SGPRBlocks: 9
; VGPRBlocks: 20
; NumSGPRsForWavesPerEU: 74
; NumVGPRsForWavesPerEU: 164
; AccumOffset: 164
; Occupancy: 3
; WaveLimiterHint : 1
; COMPUTE_PGM_RSRC2:SCRATCH_EN: 0
; COMPUTE_PGM_RSRC2:USER_SGPR: 2
; COMPUTE_PGM_RSRC2:TRAP_HANDLER: 0
; COMPUTE_PGM_RSRC2:TGID_X_EN: 1
; COMPUTE_PGM_RSRC2:TGID_Y_EN: 0
; COMPUTE_PGM_RSRC2:TGID_Z_EN: 0
; COMPUTE_PGM_RSRC2:TIDIG_COMP_CNT: 0
; COMPUTE_PGM_RSRC3_GFX90A:ACCUM_OFFSET: 40
; COMPUTE_PGM_RSRC3_GFX90A:TG_SPLIT: 0
	.text
	.p2alignl 6, 3212836864
	.fill 256, 4, 3212836864
	.type	__hip_cuid_ac133dc21323336f,@object ; @__hip_cuid_ac133dc21323336f
	.section	.bss,"aw",@nobits
	.globl	__hip_cuid_ac133dc21323336f
__hip_cuid_ac133dc21323336f:
	.byte	0                               ; 0x0
	.size	__hip_cuid_ac133dc21323336f, 1

	.ident	"AMD clang version 19.0.0git (https://github.com/RadeonOpenCompute/llvm-project roc-6.4.0 25133 c7fe45cf4b819c5991fe208aaa96edf142730f1d)"
	.section	".note.GNU-stack","",@progbits
	.addrsig
	.addrsig_sym __hip_cuid_ac133dc21323336f
	.amdgpu_metadata
---
amdhsa.kernels:
  - .agpr_count:     0
    .args:
      - .actual_access:  read_only
        .address_space:  global
        .offset:         0
        .size:           8
        .value_kind:     global_buffer
      - .offset:         8
        .size:           8
        .value_kind:     by_value
      - .actual_access:  read_only
        .address_space:  global
        .offset:         16
        .size:           8
        .value_kind:     global_buffer
      - .actual_access:  read_only
        .address_space:  global
        .offset:         24
        .size:           8
        .value_kind:     global_buffer
      - .actual_access:  read_only
        .address_space:  global
        .offset:         32
        .size:           8
        .value_kind:     global_buffer
      - .offset:         40
        .size:           8
        .value_kind:     by_value
      - .actual_access:  read_only
        .address_space:  global
        .offset:         48
        .size:           8
        .value_kind:     global_buffer
      - .actual_access:  read_only
        .address_space:  global
        .offset:         56
        .size:           8
        .value_kind:     global_buffer
      - .offset:         64
        .size:           4
        .value_kind:     by_value
      - .actual_access:  read_only
        .address_space:  global
        .offset:         72
        .size:           8
        .value_kind:     global_buffer
      - .actual_access:  read_only
        .address_space:  global
        .offset:         80
        .size:           8
        .value_kind:     global_buffer
      - .actual_access:  read_only
        .address_space:  global
        .offset:         88
        .size:           8
        .value_kind:     global_buffer
      - .actual_access:  write_only
        .address_space:  global
        .offset:         96
        .size:           8
        .value_kind:     global_buffer
    .group_segment_fixed_size: 0
    .kernarg_segment_align: 8
    .kernarg_segment_size: 104
    .language:       OpenCL C
    .language_version:
      - 2
      - 0
    .max_flat_workgroup_size: 204
    .name:           fft_rtc_fwd_len680_factors_17_4_10_wgs_204_tpt_68_halfLds_sp_op_CI_CI_sbrr_dirReg
    .private_segment_fixed_size: 0
    .sgpr_count:     74
    .sgpr_spill_count: 0
    .symbol:         fft_rtc_fwd_len680_factors_17_4_10_wgs_204_tpt_68_halfLds_sp_op_CI_CI_sbrr_dirReg.kd
    .uniform_work_group_size: 1
    .uses_dynamic_stack: false
    .vgpr_count:     164
    .vgpr_spill_count: 0
    .wavefront_size: 64
amdhsa.target:   amdgcn-amd-amdhsa--gfx950
amdhsa.version:
  - 1
  - 2
...

	.end_amdgpu_metadata
